;; amdgpu-corpus repo=ROCm/aiter kind=harvested arch=n/a opt=n/a

/root/src/amdgpu-assembly/repos/ROCm__aiter/hsa/gfx942/fmoe_fp8_g1u1_smf_subGU_320.co:	file format elf64-amdgpu

Disassembly of section .text:

0000000000002b00 <fmoe_fp8_g1u1_smf_subGU_320>:
	s_and_b32 s1, s1, 0xffff                                   // 000000002B00: 8601FF01 0000FFFF
	s_load_dwordx2 s[8:9], s[0:1], 0x0                         // 000000002B08: C0060200 00000000
	s_load_dwordx2 s[20:21], s[0:1], 0x10                      // 000000002B10: C0060500 00000010
	s_load_dwordx2 s[24:25], s[0:1], 0x20                      // 000000002B18: C0060600 00000020
	s_load_dwordx2 s[50:51], s[0:1], 0x30                      // 000000002B20: C0060C80 00000030
	s_load_dwordx2 s[12:13], s[0:1], 0x40                      // 000000002B28: C0060300 00000040
	s_load_dwordx2 s[28:29], s[0:1], 0x50                      // 000000002B30: C0060700 00000050
	s_load_dwordx2 s[32:33], s[0:1], 0x60                      // 000000002B38: C0060800 00000060
	s_load_dwordx2 s[16:17], s[0:1], 0x70                      // 000000002B40: C0060400 00000070
	s_load_dwordx2 s[36:37], s[0:1], 0x80                      // 000000002B48: C0060900 00000080
	s_load_dwordx2 s[44:45], s[0:1], 0x90                      // 000000002B50: C0060B00 00000090
	s_load_dwordx2 s[40:41], s[0:1], 0xa0                      // 000000002B58: C0060A00 000000A0
	s_load_dwordx2 s[46:47], s[0:1], 0xb0                      // 000000002B60: C0060B80 000000B0
	s_load_dword s64, s[0:1], 0xc0                             // 000000002B68: C0021000 000000C0
	s_load_dword s65, s[0:1], 0xd0                             // 000000002B70: C0021040 000000D0
	s_load_dword s66, s[0:1], 0xe0                             // 000000002B78: C0021080 000000E0
	s_load_dword s67, s[0:1], 0xf0                             // 000000002B80: C00210C0 000000F0
	s_load_dword s68, s[0:1], 0x100                            // 000000002B88: C0021100 00000100
	s_load_dword s69, s[0:1], 0x110                            // 000000002B90: C0021140 00000110
	s_load_dword s70, s[0:1], 0x120                            // 000000002B98: C0021180 00000120
	s_load_dword s71, s[0:1], 0x130                            // 000000002BA0: C00211C0 00000130
	s_load_dword s72, s[0:1], 0x140                            // 000000002BA8: C0021200 00000140
	s_load_dword s73, s[0:1], 0x150                            // 000000002BB0: C0021240 00000150
	s_load_dword s74, s[0:1], 0x160                            // 000000002BB8: C0021280 00000160
	s_load_dword s75, s[0:1], 0x170                            // 000000002BC0: C00212C0 00000170
	s_load_dword s76, s[0:1], 0x180                            // 000000002BC8: C0021300 00000180
	s_load_dword s63, s[0:1], 0x190                            // 000000002BD0: C0020FC0 00000190
	v_lshrrev_b32_e32 v1, 10, v0                               // 000000002BD8: 2002008A
	v_lshrrev_b32_e32 v2, 10, v1                               // 000000002BDC: 2004028A
	v_and_b32_e32 v2, 0x3ff, v2                                // 000000002BE0: 260404FF 000003FF
	v_and_b32_e32 v1, 0x3ff, v1                                // 000000002BE8: 260202FF 000003FF
	v_and_b32_e32 v0, 0x3ff, v0                                // 000000002BF0: 260000FF 000003FF
	v_lshrrev_b32_e32 v3, 6, v0                                // 000000002BF8: 20060086
	v_and_b32_e32 v0, 63, v0                                   // 000000002BFC: 260000BF
	s_mov_b32 s60, s2                                          // 000000002C00: BEBC0002
	s_mov_b32 s2, s3                                           // 000000002C04: BE820003
	s_mov_b32 s3, s60                                          // 000000002C08: BE83003C
	v_readfirstlane_b32 s5, v3                                 // 000000002C0C: 7E0A0503
	s_waitcnt lgkmcnt(0)                                       // 000000002C10: BF8CC07F
	s_and_b32 s51, s51, 0xffff                                 // 000000002C14: 8633FF33 0000FFFF
	s_load_dword s50, s[50:51], 0x0                            // 000000002C1C: C0020C99 00000000
	s_and_b32 s45, s45, 0xffff                                 // 000000002C24: 862DFF2D 0000FFFF
	s_and_b32 s47, s47, 0xffff                                 // 000000002C2C: 862FFF2F 0000FFFF
	s_and_b32 s9, s9, 0xffff                                   // 000000002C34: 8609FF09 0000FFFF
	s_mul_i32 s60, s66, s68                                    // 000000002C3C: 923C4442
	s_mov_b32 s22, s60                                         // 000000002C40: BE96003C
	s_mov_b32 s26, 0x80000000                                  // 000000002C44: BE9A00FF 80000000
	s_mov_b32 s14, 0x80000000                                  // 000000002C4C: BE8E00FF 80000000
	s_mov_b32 s42, 0x80000000                                  // 000000002C54: BEAA00FF 80000000
	s_mov_b32 s30, 0x80000000                                  // 000000002C5C: BE9E00FF 80000000
	s_mov_b32 s34, 0x500                                       // 000000002C64: BEA200FF 00000500
	s_mov_b32 s38, 0x500                                       // 000000002C6C: BEA600FF 00000500
	s_mov_b32 s18, 0x80000000                                  // 000000002C74: BE9200FF 80000000
	s_mov_b32 s23, 0x20000                                     // 000000002C7C: BE9700FF 00020000
	s_mov_b32 s27, 0x20000                                     // 000000002C84: BE9B00FF 00020000
	s_mov_b32 s15, 0x20000                                     // 000000002C8C: BE8F00FF 00020000
	s_mov_b32 s43, 0x20000                                     // 000000002C94: BEAB00FF 00020000
	s_mov_b32 s31, 0x20000                                     // 000000002C9C: BE9F00FF 00020000
	s_mov_b32 s35, 0x20000                                     // 000000002CA4: BEA300FF 00020000
	s_mov_b32 s39, 0x20000                                     // 000000002CAC: BEA700FF 00020000
	s_mov_b32 s19, 0x20000                                     // 000000002CB4: BE9300FF 00020000
	s_and_b32 s21, s21, 0xffff                                 // 000000002CBC: 8615FF15 0000FFFF
	s_and_b32 s25, s25, 0xffff                                 // 000000002CC4: 8619FF19 0000FFFF
	s_and_b32 s13, s13, 0xffff                                 // 000000002CCC: 860DFF0D 0000FFFF
	s_and_b32 s41, s41, 0xffff                                 // 000000002CD4: 8629FF29 0000FFFF
	s_and_b32 s29, s29, 0xffff                                 // 000000002CDC: 861DFF1D 0000FFFF
	s_and_b32 s33, s33, 0xffff                                 // 000000002CE4: 8621FF21 0000FFFF
	s_and_b32 s37, s37, 0xffff                                 // 000000002CEC: 8625FF25 0000FFFF
	s_and_b32 s17, s17, 0xffff                                 // 000000002CF4: 8611FF11 0000FFFF
	s_or_b32 s21, s21, 0x40000                                 // 000000002CFC: 8715FF15 00040000
	s_or_b32 s25, s25, 0x40000                                 // 000000002D04: 8719FF19 00040000
	s_or_b32 s13, s13, 0x40000                                 // 000000002D0C: 870DFF0D 00040000
	s_or_b32 s41, s41, 0x40000                                 // 000000002D14: 8729FF29 00040000
	s_or_b32 s29, s29, 0x40000                                 // 000000002D1C: 871DFF1D 00040000
	s_or_b32 s33, s33, 0x40000                                 // 000000002D24: 8721FF21 00040000
	s_or_b32 s37, s37, 0x40000                                 // 000000002D2C: 8725FF25 00040000
	s_or_b32 s17, s17, 0x40000                                 // 000000002D34: 8711FF11 00040000
	v_accvgpr_write_b32 a159, 0                                // 000000002D3C: D3D9409F 18000080
	v_mov_b32_e32 v231, 0                                      // 000000002D44: 7FCE0280
	s_waitcnt lgkmcnt(0)                                       // 000000002D48: BF8CC07F
	s_mul_i32 s60, s3, 32                                      // 000000002D4C: 923CA003
	s_cmp_lt_i32 s60, s50                                      // 000000002D50: BF04323C
	s_cbranch_scc0 label_2697                                  // 000000002D54: BF842601
	s_mov_b32 s80, 0                                           // 000000002D58: BED00080
	s_mov_b32 s81, s64                                         // 000000002D5C: BED10040
	s_mul_i32 s60, s3, 4                                       // 000000002D60: 923C8403
	s_add_u32 s46, s60, s46                                    // 000000002D64: 802E2E3C
	s_addc_u32 s47, 0, s47                                     // 000000002D68: 822F2F80
	s_load_dword s77, s[46:47], 0x0                            // 000000002D6C: C0021357 00000000
	s_mul_i32 s60, s3, 32                                      // 000000002D74: 923CA003
	s_add_u32 s60, s5, s60                                     // 000000002D78: 803C3C05
	s_mul_i32 s60, 4, s60                                      // 000000002D7C: 923C3C84
	s_add_u32 s44, s60, s44                                    // 000000002D80: 802C2C3C
	s_addc_u32 s45, 0, s45                                     // 000000002D84: 822D2D80
	s_load_dword s82, s[44:45], 0x0                            // 000000002D88: C0021496 00000000
	s_load_dword s83, s[44:45], 0x10                           // 000000002D90: C00214D6 00000010
	s_load_dword s84, s[44:45], 0x20                           // 000000002D98: C0021516 00000020
	s_load_dword s85, s[44:45], 0x30                           // 000000002DA0: C0021556 00000030
	s_load_dword s86, s[44:45], 0x40                           // 000000002DA8: C0021596 00000040
	s_load_dword s87, s[44:45], 0x50                           // 000000002DB0: C00215D6 00000050
	s_load_dword s88, s[44:45], 0x60                           // 000000002DB8: C0021616 00000060
	s_load_dword s89, s[44:45], 0x70                           // 000000002DC0: C0021656 00000070
	s_waitcnt lgkmcnt(0)                                       // 000000002DC8: BF8CC07F
	v_lshlrev_b32_e32 v42, 2, v0                               // 000000002DCC: 24540082
	s_and_b32 s82, s82, 0xffffff                               // 000000002DD0: 8652FF52 00FFFFFF
	s_mul_i32 s60, s82, s68                                    // 000000002DD8: 923C4452
	v_add_u32_e64 v28, v42, s60                                // 000000002DDC: D134001C 0000792A
	s_and_b32 s83, s83, 0xffffff                               // 000000002DE4: 8653FF53 00FFFFFF
	s_mul_i32 s60, s83, s68                                    // 000000002DEC: 923C4453
	v_add_u32_e64 v29, v42, s60                                // 000000002DF0: D134001D 0000792A
	s_and_b32 s84, s84, 0xffffff                               // 000000002DF8: 8654FF54 00FFFFFF
	s_mul_i32 s60, s84, s68                                    // 000000002E00: 923C4454
	v_add_u32_e64 v30, v42, s60                                // 000000002E04: D134001E 0000792A
	s_and_b32 s85, s85, 0xffffff                               // 000000002E0C: 8655FF55 00FFFFFF
	s_mul_i32 s60, s85, s68                                    // 000000002E14: 923C4455
	v_add_u32_e64 v31, v42, s60                                // 000000002E18: D134001F 0000792A
	s_and_b32 s86, s86, 0xffffff                               // 000000002E20: 8656FF56 00FFFFFF
	s_mul_i32 s60, s86, s68                                    // 000000002E28: 923C4456
	v_add_u32_e64 v32, v42, s60                                // 000000002E2C: D1340020 0000792A
	s_and_b32 s87, s87, 0xffffff                               // 000000002E34: 8657FF57 00FFFFFF
	s_mul_i32 s60, s87, s68                                    // 000000002E3C: 923C4457
	v_add_u32_e64 v33, v42, s60                                // 000000002E40: D1340021 0000792A
	s_and_b32 s88, s88, 0xffffff                               // 000000002E48: 8658FF58 00FFFFFF
	s_mul_i32 s60, s88, s68                                    // 000000002E50: 923C4458
	v_add_u32_e64 v34, v42, s60                                // 000000002E54: D1340022 0000792A
	s_and_b32 s89, s89, 0xffffff                               // 000000002E5C: 8659FF59 00FFFFFF
	s_mul_i32 s60, s89, s68                                    // 000000002E64: 923C4459
	v_add_u32_e64 v35, v42, s60                                // 000000002E68: D1340023 0000792A
	v_lshlrev_b32_e32 v42, 2, v0                               // 000000002E70: 24540082
	s_mul_i32 s60, s82, s71                                    // 000000002E74: 923C4752
	v_add_u32_e64 v80, v42, s60                                // 000000002E78: D1340050 0000792A
	v_mov_b32_e32 v81, 0                                       // 000000002E80: 7EA20280
	s_mul_i32 s60, s83, s71                                    // 000000002E84: 923C4753
	v_add_u32_e64 v82, v42, s60                                // 000000002E88: D1340052 0000792A
	v_mov_b32_e32 v83, 0                                       // 000000002E90: 7EA60280
	s_mul_i32 s60, s84, s71                                    // 000000002E94: 923C4754
	v_add_u32_e64 v84, v42, s60                                // 000000002E98: D1340054 0000792A
	v_mov_b32_e32 v85, 0                                       // 000000002EA0: 7EAA0280
	s_mul_i32 s60, s85, s71                                    // 000000002EA4: 923C4755
	v_add_u32_e64 v86, v42, s60                                // 000000002EA8: D1340056 0000792A
	v_mov_b32_e32 v87, 0                                       // 000000002EB0: 7EAE0280
	s_mul_i32 s60, s86, s71                                    // 000000002EB4: 923C4756
	v_add_u32_e64 v88, v42, s60                                // 000000002EB8: D1340058 0000792A
	v_mov_b32_e32 v89, 0                                       // 000000002EC0: 7EB20280
	s_mul_i32 s60, s87, s71                                    // 000000002EC4: 923C4757
	v_add_u32_e64 v90, v42, s60                                // 000000002EC8: D134005A 0000792A
	v_mov_b32_e32 v91, 0                                       // 000000002ED0: 7EB60280
	s_mul_i32 s60, s88, s71                                    // 000000002ED4: 923C4758
	v_add_u32_e64 v92, v42, s60                                // 000000002ED8: D134005C 0000792A
	v_mov_b32_e32 v93, 0                                       // 000000002EE0: 7EBA0280
	s_mul_i32 s60, s89, s71                                    // 000000002EE4: 923C4759
	v_add_u32_e64 v94, v42, s60                                // 000000002EE8: D134005E 0000792A
	v_mov_b32_e32 v95, 0                                       // 000000002EF0: 7EBE0280
	s_mul_i32 s60, s5, 0x208                                   // 000000002EF4: 923CFF05 00000208
	s_add_u32 s50, 0x800, s60                                  // 000000002EFC: 80323CFF 00000800
	s_add_u32 s51, 0x4100, s50                                 // 000000002F04: 803332FF 00004100
	v_lshrrev_b32_e32 v42, 4, v0                               // 000000002F0C: 20540084
	v_lshlrev_b32_e32 v43, 1, v42                              // 000000002F10: 24565481
	v_and_b32_e32 v42, 15, v0                                  // 000000002F14: 2654008F
	v_mul_i32_i24_e32 v42, 0x82, v42                           // 000000002F18: 0C5454FF 00000082
	v_add_u32_e32 v43, v42, v43                                // 000000002F20: 6856572A
	v_lshlrev_b32_e32 v2, 2, v43                               // 000000002F24: 24045682
	s_mul_i32 s60, s5, 32                                      // 000000002F28: 923CA005
	v_add_u32_e32 v2, s60, v2                                  // 000000002F2C: 6804043C
	v_lshlrev_b32_e32 v42, 3, v0                               // 000000002F30: 24540083
	s_mul_i32 s60, 0x200, s5                                   // 000000002F34: 923C05FF 00000200
	v_add_u32_e32 v3, s60, v42                                 // 000000002F3C: 6806543C
	v_and_b32_e32 v42, 15, v0                                  // 000000002F40: 2654008F
	v_lshlrev_b32_e32 v4, 3, v42                               // 000000002F44: 24085483
	v_lshrrev_b32_e32 v42, 5, v0                               // 000000002F48: 20540085
	v_lshlrev_b32_e32 v43, 5, v42                              // 000000002F4C: 24565485
	v_and_b32_e32 v42, 31, v0                                  // 000000002F50: 2654009F
	v_lshrrev_b32_e32 v44, 4, v42                              // 000000002F54: 20585484
	v_add_u32_e32 v43, v44, v43                                // 000000002F58: 6856572C
	v_and_b32_e32 v42, 15, v0                                  // 000000002F5C: 2654008F
	v_lshlrev_b32_e32 v42, 1, v42                              // 000000002F60: 24545481
	v_add_u32_e32 v43, v42, v43                                // 000000002F64: 6856572A
	v_lshlrev_b32_e32 v42, 2, v43                              // 000000002F68: 24545682
	s_mul_i32 s60, 0x100, s5                                   // 000000002F6C: 923C05FF 00000100
	v_add_u32_e64 v12, v42, s60                                // 000000002F74: D134000C 0000792A
	v_lshrrev_b32_e32 v42, 4, v0                               // 000000002F7C: 20540084
	v_lshlrev_b32_e32 v43, 6, v42                              // 000000002F80: 24565486
	v_and_b32_e32 v42, 15, v0                                  // 000000002F84: 2654008F
	v_lshlrev_b32_e32 v42, 1, v42                              // 000000002F88: 24545481
	v_add_u32_e32 v43, v42, v43                                // 000000002F8C: 6856572A
	v_lshlrev_b32_e32 v13, 2, v43                              // 000000002F90: 241A5682
	s_mul_i32 s60, s2, 0x140                                   // 000000002F94: 923CFF02 00000140
	s_mul_i32 s60, s60, s69                                    // 000000002F9C: 923C453C
	s_mul_i32 s61, s77, s72                                    // 000000002FA0: 923D484D
	s_add_u32 s60, s61, s60                                    // 000000002FA4: 803C3C3D
	s_add_u32 s24, s60, s24                                    // 000000002FA8: 8018183C
	s_addc_u32 s25, 0, s25                                     // 000000002FAC: 82191980
	s_mul_i32 s60, s5, 16                                      // 000000002FB0: 923C9005
	s_mul_i32 s60, s60, s69                                    // 000000002FB4: 923C453C
	v_lshlrev_b32_e32 v36, 4, v0                               // 000000002FB8: 24480084
	v_add_u32_e32 v36, s60, v36                                // 000000002FBC: 6848483C
	s_mul_i32 s60, 64, s69                                     // 000000002FC0: 923C45C0
	v_add_u32_e32 v37, s60, v36                                // 000000002FC4: 684A483C
	v_add_u32_e32 v38, s60, v37                                // 000000002FC8: 684C4A3C
	v_add_u32_e32 v39, s60, v38                                // 000000002FCC: 684E4C3C
	v_add_u32_e32 v40, s60, v39                                // 000000002FD0: 68504E3C
	s_mov_b32 s92, s24                                         // 000000002FD4: BEDC0018
	s_mov_b32 s93, s25                                         // 000000002FD8: BEDD0019
	s_mov_b32 s94, s26                                         // 000000002FDC: BEDE001A
	s_mov_b32 s95, s27                                         // 000000002FE0: BEDF001B
	s_mul_i32 s60, s69, s65                                    // 000000002FE4: 923C4145
	s_add_u32 s92, s60, s92                                    // 000000002FE8: 805C5C3C
	s_addc_u32 s93, 0, s93                                     // 000000002FEC: 825D5D80
	s_mul_i32 s60, s2, 0x1400                                  // 000000002FF0: 923CFF02 00001400
	s_mul_i32 s61, s77, s73                                    // 000000002FF8: 923D494D
	s_add_u32 s60, s61, s60                                    // 000000002FFC: 803C3C3D
	s_add_u32 s12, s60, s12                                    // 000000003000: 800C0C3C
	s_addc_u32 s13, 0, s13                                     // 000000003004: 820D0D80
	s_mul_i32 s60, s70, 0x100                                  // 000000003008: 923CFF46 00000100
	s_mov_b32 s78, 0x400                                       // 000000003010: BECE00FF 00000400
	s_mul_i32 s61, s78, 4                                      // 000000003018: 923D844E
	s_sub_u32 s56, s60, s61                                    // 00000000301C: 80B83D3C
	s_mul_i32 s60, s3, 32                                      // 000000003020: 923CA003
	s_mul_i32 s60, 4, s60                                      // 000000003024: 923C3C84
	s_add_u32 s40, s60, s40                                    // 000000003028: 8028283C
	s_addc_u32 s41, 0, s41                                     // 00000000302C: 82292980
	v_and_b32_e32 v42, 15, v0                                  // 000000003030: 2654008F
	v_lshlrev_b32_e32 v8, 2, v42                               // 000000003034: 24105482
	v_add_u32_e32 v9, 64, v8                                   // 000000003038: 681210C0
	v_lshrrev_b32_e32 v42, 4, v0                               // 00000000303C: 20540084
	v_lshlrev_b32_e32 v43, 2, v42                              // 000000003040: 24565482
	v_and_b32_e32 v42, 15, v0                                  // 000000003044: 2654008F
	v_lshrrev_b32_e32 v44, 2, v42                              // 000000003048: 20585482
	v_lshlrev_b32_e32 v44, 6, v44                              // 00000000304C: 24585886
	v_add_u32_e32 v43, v44, v43                                // 000000003050: 6856572C
	v_and_b32_e32 v42, 3, v0                                   // 000000003054: 26540083
	v_add_u32_e32 v43, v42, v43                                // 000000003058: 6856572A
	v_lshlrev_b32_e32 v10, 2, v43                              // 00000000305C: 24145682
	v_add_u32_e32 v11, 0x400, v10                              // 000000003060: 681614FF 00000400
	s_mul_i32 s60, s5, 16                                      // 000000003068: 923C9005
	s_mul_i32 s60, s60, 4                                      // 00000000306C: 923C843C
	v_add_u32_e32 v10, s60, v10                                // 000000003070: 6814143C
	v_add_u32_e32 v11, s60, v11                                // 000000003074: 6816163C
	v_mov_b32_e32 v5, v10                                      // 000000003078: 7E0A030A
	v_mov_b32_e32 v6, v10                                      // 00000000307C: 7E0C030A
	s_mul_i32 s60, s2, 0x140                                   // 000000003080: 923CFF02 00000140
	s_mul_i32 s60, s60, 4                                      // 000000003088: 923C843C
	s_mul_i32 s61, s77, s74                                    // 00000000308C: 923D4A4D
	s_add_u32 s61, s61, s60                                    // 000000003090: 803D3C3D
	s_mul_i32 s62, s77, s76                                    // 000000003094: 923E4C4D
	s_add_u32 s62, s62, s60                                    // 000000003098: 803E3C3E
	s_add_u32 s32, s61, s32                                    // 00000000309C: 8020203D
	s_addc_u32 s33, 0, s33                                     // 0000000030A0: 82212180
	s_add_u32 s36, s62, s36                                    // 0000000030A4: 8024243E
	s_addc_u32 s37, 0, s37                                     // 0000000030A8: 82252580
	s_mul_i32 s60, s77, s75                                    // 0000000030AC: 923C4B4D
	s_add_u32 s16, s60, s16                                    // 0000000030B0: 8010103C
	s_addc_u32 s17, 0, s17                                     // 0000000030B4: 82111180
	s_add_u32 s28, s60, s28                                    // 0000000030B8: 801C1C3C
	s_addc_u32 s29, 0, s29                                     // 0000000030BC: 821D1D80
	s_mov_b32 s57, 0x200                                       // 0000000030C0: BEB900FF 00000200
	s_mov_b32 s58, 0x1000                                      // 0000000030C8: BEBA00FF 00001000
	s_mov_b32 s79, 0x400                                       // 0000000030D0: BECF00FF 00000400
	s_mov_b32 s91, 0x400                                       // 0000000030D8: BEDB00FF 00000400
	s_mov_b32 s59, 0x200                                       // 0000000030E0: BEBB00FF 00000200
	s_mov_b32 s90, s58                                         // 0000000030E8: BEDA003A
	s_mov_b32 s52, 0x7060302                                   // 0000000030EC: BEB400FF 07060302
	s_mov_b32 s53, 0x400                                       // 0000000030F4: BEB500FF 00000400
	s_mov_b32 s54, 0x40100                                     // 0000000030FC: BEB600FF 00040100
	s_mov_b32 s55, 0x4020100                                   // 000000003104: BEB700FF 04020100
	s_mov_b32 s6, 0x3fb8aa3b                                   // 00000000310C: BE8600FF 3FB8AA3B
	s_mov_b32 s7, 0x3fb8aa3b                                   // 000000003114: BE8700FF 3FB8AA3B
	s_mov_b32 s3, 0xbd92220c                                   // 00000000311C: BE8300FF BD92220C
	s_mov_b32 s4, 0xbd92220c                                   // 000000003124: BE8400FF BD92220C
	s_mov_b32 m0, s50                                          // 00000000312C: BEFC0032
	v_mov_b32_e32 v54, 0xbfcc4231                              // 000000003130: 7E6C02FF BFCC4231
	v_mov_b32_e32 v55, 0xbfcc4231                              // 000000003138: 7E6E02FF BFCC4231
	v_mov_b32_e32 v51, 0xffff0000                              // 000000003140: 7E6602FF FFFF0000
	v_mov_b32_e32 v52, 0x7fff0000                              // 000000003148: 7E6802FF 7FFF0000
	v_mov_b32_e32 v53, 0x7fff                                  // 000000003150: 7E6A02FF 00007FFF
	buffer_load_dword v20, v8, s[40:43], 0 offen               // 000000003158: E0501000 800A1408
	buffer_load_dword v21, v9, s[40:43], 0 offen               // 000000003160: E0501000 800A1509
	buffer_load_dword v16, v10, s[32:35], 0 offen              // 000000003168: E0501000 8008100A
	buffer_load_dword v17, v11, s[32:35], 0 offen              // 000000003170: E0501000 8008110B
	s_mul_i32 s60, 4, s65                                      // 000000003178: 923C4184
	s_add_u32 s32, s60, s32                                    // 00000000317C: 8020203C
	s_addc_u32 s33, 0, s33                                     // 000000003180: 82212180
	buffer_load_dword v8, v10, s[32:35], 0 offen               // 000000003184: E0501000 8008080A
	buffer_load_dword v9, v11, s[32:35], 0 offen               // 00000000318C: E0501000 8008090B
	buffer_load_dword v18, v10, s[36:39], 0 offen              // 000000003194: E0501000 8009120A
	buffer_load_dword v19, v11, s[36:39], 0 offen              // 00000000319C: E0501000 8009130B
	buffer_load_dword v14, v6, s[28:31], 0 offen               // 0000000031A4: E0501000 80070E06
	s_add_u32 s28, s91, s28                                    // 0000000031AC: 801C1C5B
	s_addc_u32 s29, 0, s29                                     // 0000000031B0: 821D1D80
	buffer_load_dword v28, s[20:23], 0 offen lds               // 0000000031B4: E0511000 8005001C
	buffer_load_dword v28, s[20:23], 0 offen offset:256 lds    // 0000000031BC: E0511100 8005001C
	s_add_u32 m0, 0x820, s50                                   // 0000000031C4: 807C32FF 00000820
	buffer_load_dword v29, s[20:23], 0 offen lds               // 0000000031CC: E0511000 8005001D
	buffer_load_dword v29, s[20:23], 0 offen offset:256 lds    // 0000000031D4: E0511100 8005001D
	s_add_u32 m0, 0x1040, s50                                  // 0000000031DC: 807C32FF 00001040
	buffer_load_dword v30, s[20:23], 0 offen lds               // 0000000031E4: E0511000 8005001E
	buffer_load_dword v30, s[20:23], 0 offen offset:256 lds    // 0000000031EC: E0511100 8005001E
	s_add_u32 m0, 0x1860, s50                                  // 0000000031F4: 807C32FF 00001860
	buffer_load_dword v31, s[20:23], 0 offen lds               // 0000000031FC: E0511000 8005001F
	buffer_load_dword v31, s[20:23], 0 offen offset:256 lds    // 000000003204: E0511100 8005001F
	s_add_u32 m0, 0x2080, s50                                  // 00000000320C: 807C32FF 00002080
	buffer_load_dword v32, s[20:23], 0 offen lds               // 000000003214: E0511000 80050020
	buffer_load_dword v32, s[20:23], 0 offen offset:256 lds    // 00000000321C: E0511100 80050020
	s_add_u32 m0, 0x28a0, s50                                  // 000000003224: 807C32FF 000028A0
	buffer_load_dword v33, s[20:23], 0 offen lds               // 00000000322C: E0511000 80050021
	buffer_load_dword v33, s[20:23], 0 offen offset:256 lds    // 000000003234: E0511100 80050021
	s_add_u32 m0, 0x30c0, s50                                  // 00000000323C: 807C32FF 000030C0
	buffer_load_dword v34, s[20:23], 0 offen lds               // 000000003244: E0511000 80050022
	buffer_load_dword v34, s[20:23], 0 offen offset:256 lds    // 00000000324C: E0511100 80050022
	s_add_u32 m0, 0x38e0, s50                                  // 000000003254: 807C32FF 000038E0
	buffer_load_dword v35, s[20:23], 0 offen lds               // 00000000325C: E0511000 80050023
	buffer_load_dword v35, s[20:23], 0 offen offset:256 lds    // 000000003264: E0511100 80050023
	s_add_u32 m0, 0, s51                                       // 00000000326C: 807C3380
	s_add_u32 s20, s57, s20                                    // 000000003270: 80141439
	s_addc_u32 s21, 0, s21                                     // 000000003274: 82151580
	buffer_load_dwordx4 a[0:3], v36, s[24:27], 0 offen         // 000000003278: E05C1000 80860024
	buffer_load_dwordx4 a[4:7], v36, s[24:27], 0 offen offset:1024// 000000003280: E05C1400 80860424
	buffer_load_dwordx4 a[8:11], v36, s[24:27], 0 offen offset:2048// 000000003288: E05C1800 80860824
	buffer_load_dwordx4 a[12:15], v36, s[24:27], 0 offen offset:3072// 000000003290: E05C1C00 80860C24
	buffer_load_dwordx4 a[16:19], v37, s[24:27], 0 offen       // 000000003298: E05C1000 80861025
	buffer_load_dwordx4 a[20:23], v37, s[24:27], 0 offen offset:1024// 0000000032A0: E05C1400 80861425
	buffer_load_dwordx4 a[24:27], v37, s[24:27], 0 offen offset:2048// 0000000032A8: E05C1800 80861825
	buffer_load_dwordx4 a[28:31], v37, s[24:27], 0 offen offset:3072// 0000000032B0: E05C1C00 80861C25
	buffer_load_dwordx4 a[32:35], v38, s[24:27], 0 offen       // 0000000032B8: E05C1000 80862026
	buffer_load_dwordx4 a[36:39], v38, s[24:27], 0 offen offset:1024// 0000000032C0: E05C1400 80862426
	buffer_load_dwordx4 a[40:43], v38, s[24:27], 0 offen offset:2048// 0000000032C8: E05C1800 80862826
	buffer_load_dwordx4 a[44:47], v38, s[24:27], 0 offen offset:3072// 0000000032D0: E05C1C00 80862C26
	buffer_load_dwordx4 a[48:51], v39, s[24:27], 0 offen       // 0000000032D8: E05C1000 80863027
	buffer_load_dwordx4 a[52:55], v39, s[24:27], 0 offen offset:1024// 0000000032E0: E05C1400 80863427
	buffer_load_dwordx4 a[56:59], v39, s[24:27], 0 offen offset:2048// 0000000032E8: E05C1800 80863827
	buffer_load_dwordx4 a[60:63], v39, s[24:27], 0 offen offset:3072// 0000000032F0: E05C1C00 80863C27
	buffer_load_dwordx4 a[64:67], v40, s[24:27], 0 offen       // 0000000032F8: E05C1000 80864028
	buffer_load_dwordx4 a[68:71], v40, s[24:27], 0 offen offset:1024// 000000003300: E05C1400 80864428
	buffer_load_dwordx4 a[72:75], v40, s[24:27], 0 offen offset:2048// 000000003308: E05C1800 80864828
	buffer_load_dwordx4 a[76:79], v40, s[24:27], 0 offen offset:3072// 000000003310: E05C1C00 80864C28
	s_add_u32 s24, s58, s24                                    // 000000003318: 8018183A
	s_addc_u32 s25, 0, s25                                     // 00000000331C: 82191980
	v_mov_b32_e32 v128, 0                                      // 000000003320: 7F000280
	v_mov_b32_e32 v64, 0                                       // 000000003324: 7E800280
	v_mov_b32_e32 v129, 0                                      // 000000003328: 7F020280
	v_mov_b32_e32 v65, 0                                       // 00000000332C: 7E820280
	v_mov_b32_e32 v130, 0                                      // 000000003330: 7F040280
	v_mov_b32_e32 v66, 0                                       // 000000003334: 7E840280
	v_mov_b32_e32 v131, 0                                      // 000000003338: 7F060280
	v_mov_b32_e32 v67, 0                                       // 00000000333C: 7E860280
	v_mov_b32_e32 v132, 0                                      // 000000003340: 7F080280
	v_mov_b32_e32 v68, 0                                       // 000000003344: 7E880280
	v_mov_b32_e32 v133, 0                                      // 000000003348: 7F0A0280
	v_mov_b32_e32 v69, 0                                       // 00000000334C: 7E8A0280
	v_mov_b32_e32 v134, 0                                      // 000000003350: 7F0C0280
	v_mov_b32_e32 v70, 0                                       // 000000003354: 7E8C0280
	v_mov_b32_e32 v135, 0                                      // 000000003358: 7F0E0280
	v_mov_b32_e32 v71, 0                                       // 00000000335C: 7E8E0280
	v_mov_b32_e32 v136, 0                                      // 000000003360: 7F100280
	v_mov_b32_e32 v72, 0                                       // 000000003364: 7E900280
	v_mov_b32_e32 v137, 0                                      // 000000003368: 7F120280
	v_mov_b32_e32 v73, 0                                       // 00000000336C: 7E920280
	v_mov_b32_e32 v138, 0                                      // 000000003370: 7F140280
	v_mov_b32_e32 v74, 0                                       // 000000003374: 7E940280
	v_mov_b32_e32 v139, 0                                      // 000000003378: 7F160280
	v_mov_b32_e32 v75, 0                                       // 00000000337C: 7E960280
	v_mov_b32_e32 v140, 0                                      // 000000003380: 7F180280
	v_mov_b32_e32 v76, 0                                       // 000000003384: 7E980280
	v_mov_b32_e32 v141, 0                                      // 000000003388: 7F1A0280
	v_mov_b32_e32 v77, 0                                       // 00000000338C: 7E9A0280
	v_mov_b32_e32 v142, 0                                      // 000000003390: 7F1C0280
	v_mov_b32_e32 v78, 0                                       // 000000003394: 7E9C0280
	v_mov_b32_e32 v143, 0                                      // 000000003398: 7F1E0280
	v_mov_b32_e32 v79, 0                                       // 00000000339C: 7E9E0280
	v_mov_b32_e32 v144, 0                                      // 0000000033A0: 7F200280
	v_mov_b32_e32 v80, 0                                       // 0000000033A4: 7EA00280
	v_mov_b32_e32 v145, 0                                      // 0000000033A8: 7F220280
	v_mov_b32_e32 v81, 0                                       // 0000000033AC: 7EA20280
	v_mov_b32_e32 v146, 0                                      // 0000000033B0: 7F240280
	v_mov_b32_e32 v82, 0                                       // 0000000033B4: 7EA40280
	v_mov_b32_e32 v147, 0                                      // 0000000033B8: 7F260280
	v_mov_b32_e32 v83, 0                                       // 0000000033BC: 7EA60280
	v_mov_b32_e32 v148, 0                                      // 0000000033C0: 7F280280
	v_mov_b32_e32 v84, 0                                       // 0000000033C4: 7EA80280
	v_mov_b32_e32 v149, 0                                      // 0000000033C8: 7F2A0280
	v_mov_b32_e32 v85, 0                                       // 0000000033CC: 7EAA0280
	v_mov_b32_e32 v150, 0                                      // 0000000033D0: 7F2C0280
	v_mov_b32_e32 v86, 0                                       // 0000000033D4: 7EAC0280
	v_mov_b32_e32 v151, 0                                      // 0000000033D8: 7F2E0280
	v_mov_b32_e32 v87, 0                                       // 0000000033DC: 7EAE0280
	v_mov_b32_e32 v152, 0                                      // 0000000033E0: 7F300280
	v_mov_b32_e32 v88, 0                                       // 0000000033E4: 7EB00280
	v_mov_b32_e32 v153, 0                                      // 0000000033E8: 7F320280
	v_mov_b32_e32 v89, 0                                       // 0000000033EC: 7EB20280
	v_mov_b32_e32 v154, 0                                      // 0000000033F0: 7F340280
	v_mov_b32_e32 v90, 0                                       // 0000000033F4: 7EB40280
	v_mov_b32_e32 v155, 0                                      // 0000000033F8: 7F360280
	v_mov_b32_e32 v91, 0                                       // 0000000033FC: 7EB60280
	v_mov_b32_e32 v156, 0                                      // 000000003400: 7F380280
	v_mov_b32_e32 v92, 0                                       // 000000003404: 7EB80280
	v_mov_b32_e32 v157, 0                                      // 000000003408: 7F3A0280
	v_mov_b32_e32 v93, 0                                       // 00000000340C: 7EBA0280
	v_mov_b32_e32 v158, 0                                      // 000000003410: 7F3C0280
	v_mov_b32_e32 v94, 0                                       // 000000003414: 7EBC0280
	v_mov_b32_e32 v159, 0                                      // 000000003418: 7F3E0280
	v_mov_b32_e32 v95, 0                                       // 00000000341C: 7EBE0280
	v_mov_b32_e32 v160, 0                                      // 000000003420: 7F400280
	v_mov_b32_e32 v96, 0                                       // 000000003424: 7EC00280
	v_mov_b32_e32 v161, 0                                      // 000000003428: 7F420280
	v_mov_b32_e32 v97, 0                                       // 00000000342C: 7EC20280
	v_mov_b32_e32 v162, 0                                      // 000000003430: 7F440280
	v_mov_b32_e32 v98, 0                                       // 000000003434: 7EC40280
	v_mov_b32_e32 v163, 0                                      // 000000003438: 7F460280
	v_mov_b32_e32 v99, 0                                       // 00000000343C: 7EC60280
	v_mov_b32_e32 v164, 0                                      // 000000003440: 7F480280
	v_mov_b32_e32 v100, 0                                      // 000000003444: 7EC80280
	v_mov_b32_e32 v165, 0                                      // 000000003448: 7F4A0280
	v_mov_b32_e32 v101, 0                                      // 00000000344C: 7ECA0280
	v_mov_b32_e32 v166, 0                                      // 000000003450: 7F4C0280
	v_mov_b32_e32 v102, 0                                      // 000000003454: 7ECC0280
	v_mov_b32_e32 v167, 0                                      // 000000003458: 7F4E0280
	v_mov_b32_e32 v103, 0                                      // 00000000345C: 7ECE0280
	s_waitcnt vmcnt(20)                                        // 000000003460: BF8C4F74
	s_barrier                                                  // 000000003464: BF8A0000
	ds_read_b64 v[168:169], v2 offset:2048                     // 000000003468: D8EC0800 A8000002
	ds_read_b64 v[172:173], v2 offset:10368                    // 000000003470: D8EC2880 AC000002
	ds_read_b64 v[176:177], v2 offset:2176                     // 000000003478: D8EC0880 B0000002
	ds_read_b64 v[180:181], v2 offset:10496                    // 000000003480: D8EC2900 B4000002
	ds_read_b64 v[184:185], v2 offset:2304                     // 000000003488: D8EC0900 B8000002
	ds_read_b64 v[188:189], v2 offset:10624                    // 000000003490: D8EC2980 BC000002
	ds_read_b64 v[192:193], v2 offset:2432                     // 000000003498: D8EC0980 C0000002
	ds_read_b64 v[196:197], v2 offset:10752                    // 0000000034A0: D8EC2A00 C4000002
	s_waitcnt lgkmcnt(0)                                       // 0000000034A8: BF8CC07F
	v_and_b32_e32 v171, 0xffff0000, v169                       // 0000000034AC: 275752FF FFFF0000
	v_lshlrev_b32_e32 v170, 16, v169                           // 0000000034B4: 25555290
	v_and_b32_e32 v169, 0xffff0000, v168                       // 0000000034B8: 275350FF FFFF0000
	v_lshlrev_b32_e32 v168, 16, v168                           // 0000000034C0: 25515090
	v_and_b32_e32 v175, 0xffff0000, v173                       // 0000000034C4: 275F5AFF FFFF0000
	v_lshlrev_b32_e32 v174, 16, v173                           // 0000000034CC: 255D5A90
	v_and_b32_e32 v173, 0xffff0000, v172                       // 0000000034D0: 275B58FF FFFF0000
	v_lshlrev_b32_e32 v172, 16, v172                           // 0000000034D8: 25595890
	v_and_b32_e32 v179, 0xffff0000, v177                       // 0000000034DC: 276762FF FFFF0000
	v_lshlrev_b32_e32 v178, 16, v177                           // 0000000034E4: 25656290
	v_and_b32_e32 v177, 0xffff0000, v176                       // 0000000034E8: 276360FF FFFF0000
	v_lshlrev_b32_e32 v176, 16, v176                           // 0000000034F0: 25616090
	v_and_b32_e32 v183, 0xffff0000, v181                       // 0000000034F4: 276F6AFF FFFF0000
	v_lshlrev_b32_e32 v182, 16, v181                           // 0000000034FC: 256D6A90
	v_and_b32_e32 v181, 0xffff0000, v180                       // 000000003500: 276B68FF FFFF0000
	v_lshlrev_b32_e32 v180, 16, v180                           // 000000003508: 25696890
	v_and_b32_e32 v187, 0xffff0000, v185                       // 00000000350C: 277772FF FFFF0000
	v_lshlrev_b32_e32 v186, 16, v185                           // 000000003514: 25757290
	v_and_b32_e32 v185, 0xffff0000, v184                       // 000000003518: 277370FF FFFF0000
	v_lshlrev_b32_e32 v184, 16, v184                           // 000000003520: 25717090
	v_and_b32_e32 v191, 0xffff0000, v189                       // 000000003524: 277F7AFF FFFF0000
	v_lshlrev_b32_e32 v190, 16, v189                           // 00000000352C: 257D7A90
	v_and_b32_e32 v189, 0xffff0000, v188                       // 000000003530: 277B78FF FFFF0000
	v_lshlrev_b32_e32 v188, 16, v188                           // 000000003538: 25797890
	v_and_b32_e32 v195, 0xffff0000, v193                       // 00000000353C: 278782FF FFFF0000
	v_lshlrev_b32_e32 v194, 16, v193                           // 000000003544: 25858290
	v_and_b32_e32 v193, 0xffff0000, v192                       // 000000003548: 278380FF FFFF0000
	v_lshlrev_b32_e32 v192, 16, v192                           // 000000003550: 25818090
	v_and_b32_e32 v199, 0xffff0000, v197                       // 000000003554: 278F8AFF FFFF0000
	v_lshlrev_b32_e32 v198, 16, v197                           // 00000000355C: 258D8A90
	v_and_b32_e32 v197, 0xffff0000, v196                       // 000000003560: 278B88FF FFFF0000
	v_lshlrev_b32_e32 v196, 16, v196                           // 000000003568: 25898890
	v_mul_f32_dpp v168, v14, v168 row_newbcast:0 row_mask:0xf bank_mask:0xf// 00000000356C: 0B5150FA FF01500E
	v_mul_f32_dpp v169, v14, v169 row_newbcast:1 row_mask:0xf bank_mask:0xf// 000000003574: 0B5352FA FF01510E
	v_mul_f32_dpp v170, v14, v170 row_newbcast:2 row_mask:0xf bank_mask:0xf// 00000000357C: 0B5554FA FF01520E
	v_mul_f32_dpp v171, v14, v171 row_newbcast:3 row_mask:0xf bank_mask:0xf// 000000003584: 0B5756FA FF01530E
	v_mul_f32_dpp v172, v14, v172 row_newbcast:0 row_mask:0xf bank_mask:0xf// 00000000358C: 0B5958FA FF01500E
	v_mul_f32_dpp v173, v14, v173 row_newbcast:1 row_mask:0xf bank_mask:0xf// 000000003594: 0B5B5AFA FF01510E
	v_mul_f32_dpp v174, v14, v174 row_newbcast:2 row_mask:0xf bank_mask:0xf// 00000000359C: 0B5D5CFA FF01520E
	v_mul_f32_dpp v175, v14, v175 row_newbcast:3 row_mask:0xf bank_mask:0xf// 0000000035A4: 0B5F5EFA FF01530E
	v_mul_f32_dpp v176, v14, v176 row_newbcast:4 row_mask:0xf bank_mask:0xf// 0000000035AC: 0B6160FA FF01540E
	v_mul_f32_dpp v177, v14, v177 row_newbcast:5 row_mask:0xf bank_mask:0xf// 0000000035B4: 0B6362FA FF01550E
	v_mul_f32_dpp v178, v14, v178 row_newbcast:6 row_mask:0xf bank_mask:0xf// 0000000035BC: 0B6564FA FF01560E
	v_mul_f32_dpp v179, v14, v179 row_newbcast:7 row_mask:0xf bank_mask:0xf// 0000000035C4: 0B6766FA FF01570E
	v_mul_f32_dpp v180, v14, v180 row_newbcast:4 row_mask:0xf bank_mask:0xf// 0000000035CC: 0B6968FA FF01540E
	v_mul_f32_dpp v181, v14, v181 row_newbcast:5 row_mask:0xf bank_mask:0xf// 0000000035D4: 0B6B6AFA FF01550E
	v_mul_f32_dpp v182, v14, v182 row_newbcast:6 row_mask:0xf bank_mask:0xf// 0000000035DC: 0B6D6CFA FF01560E
	v_mul_f32_dpp v183, v14, v183 row_newbcast:7 row_mask:0xf bank_mask:0xf// 0000000035E4: 0B6F6EFA FF01570E
	v_mul_f32_dpp v184, v14, v184 row_newbcast:8 row_mask:0xf bank_mask:0xf// 0000000035EC: 0B7170FA FF01580E
	v_mul_f32_dpp v185, v14, v185 row_newbcast:9 row_mask:0xf bank_mask:0xf// 0000000035F4: 0B7372FA FF01590E
	v_mul_f32_dpp v186, v14, v186 row_newbcast:10 row_mask:0xf bank_mask:0xf// 0000000035FC: 0B7574FA FF015A0E
	v_mul_f32_dpp v187, v14, v187 row_newbcast:11 row_mask:0xf bank_mask:0xf// 000000003604: 0B7776FA FF015B0E
	v_mul_f32_dpp v188, v14, v188 row_newbcast:8 row_mask:0xf bank_mask:0xf// 00000000360C: 0B7978FA FF01580E
	v_mul_f32_dpp v189, v14, v189 row_newbcast:9 row_mask:0xf bank_mask:0xf// 000000003614: 0B7B7AFA FF01590E
	v_mul_f32_dpp v190, v14, v190 row_newbcast:10 row_mask:0xf bank_mask:0xf// 00000000361C: 0B7D7CFA FF015A0E
	v_mul_f32_dpp v191, v14, v191 row_newbcast:11 row_mask:0xf bank_mask:0xf// 000000003624: 0B7F7EFA FF015B0E
	v_mul_f32_dpp v192, v14, v192 row_newbcast:12 row_mask:0xf bank_mask:0xf// 00000000362C: 0B8180FA FF015C0E
	v_mul_f32_dpp v193, v14, v193 row_newbcast:13 row_mask:0xf bank_mask:0xf// 000000003634: 0B8382FA FF015D0E
	v_mul_f32_dpp v194, v14, v194 row_newbcast:14 row_mask:0xf bank_mask:0xf// 00000000363C: 0B8584FA FF015E0E
	v_mul_f32_dpp v195, v14, v195 row_newbcast:15 row_mask:0xf bank_mask:0xf// 000000003644: 0B8786FA FF015F0E
	v_mul_f32_dpp v196, v14, v196 row_newbcast:12 row_mask:0xf bank_mask:0xf// 00000000364C: 0B8988FA FF015C0E
	v_mul_f32_dpp v197, v14, v197 row_newbcast:13 row_mask:0xf bank_mask:0xf// 000000003654: 0B8B8AFA FF015D0E
	v_mul_f32_dpp v198, v14, v198 row_newbcast:14 row_mask:0xf bank_mask:0xf// 00000000365C: 0B8D8CFA FF015E0E
	v_mul_f32_dpp v199, v14, v199 row_newbcast:15 row_mask:0xf bank_mask:0xf// 000000003664: 0B8F8EFA FF015F0E
	v_mov_b32_e32 v46, 0x358637bd                              // 00000000366C: 7E5C02FF 358637BD
	v_mov_b32_e32 v47, 0x358637bd                              // 000000003674: 7E5E02FF 358637BD
	v_max3_f32 v46, |v168|, |v169|, v46                        // 00000000367C: D1D3032E 04BB53A8
	v_max3_f32 v46, |v170|, |v171|, v46                        // 000000003684: D1D3032E 04BB57AA
	v_max3_f32 v47, |v172|, |v173|, v47                        // 00000000368C: D1D3032F 04BF5BAC
	v_max3_f32 v47, |v174|, |v175|, v47                        // 000000003694: D1D3032F 04BF5FAE
	v_max3_f32 v46, |v176|, |v177|, v46                        // 00000000369C: D1D3032E 04BB63B0
	v_max3_f32 v46, |v178|, |v179|, v46                        // 0000000036A4: D1D3032E 04BB67B2
	v_max3_f32 v47, |v180|, |v181|, v47                        // 0000000036AC: D1D3032F 04BF6BB4
	v_max3_f32 v47, |v182|, |v183|, v47                        // 0000000036B4: D1D3032F 04BF6FB6
	v_max3_f32 v46, |v184|, |v185|, v46                        // 0000000036BC: D1D3032E 04BB73B8
	v_max3_f32 v46, |v186|, |v187|, v46                        // 0000000036C4: D1D3032E 04BB77BA
	v_max3_f32 v47, |v188|, |v189|, v47                        // 0000000036CC: D1D3032F 04BF7BBC
	v_max3_f32 v47, |v190|, |v191|, v47                        // 0000000036D4: D1D3032F 04BF7FBE
	v_max3_f32 v46, |v192|, |v193|, v46                        // 0000000036DC: D1D3032E 04BB83C0
	v_max3_f32 v46, |v194|, |v195|, v46                        // 0000000036E4: D1D3032E 04BB87C2
	v_max3_f32 v47, |v196|, |v197|, v47                        // 0000000036EC: D1D3032F 04BF8BC4
	v_max3_f32 v47, |v198|, |v199|, v47                        // 0000000036F4: D1D3032F 04BF8FC6
	ds_write_b64 v3, v[46:47]                                  // 0000000036FC: D89A0000 00002E03
	s_waitcnt lgkmcnt(0)                                       // 000000003704: BF8CC07F
	s_barrier                                                  // 000000003708: BF8A0000
	ds_read_b64 v[46:47], v4                                   // 00000000370C: D8EC0000 2E000004
	ds_read_b64 v[48:49], v4 offset:128                        // 000000003714: D8EC0080 30000004
	ds_read_b64 v[50:51], v4 offset:256                        // 00000000371C: D8EC0100 32000004
	ds_read_b64 v[52:53], v4 offset:384                        // 000000003724: D8EC0180 34000004
	ds_read_b64 v[54:55], v4 offset:512                        // 00000000372C: D8EC0200 36000004
	ds_read_b64 v[56:57], v4 offset:640                        // 000000003734: D8EC0280 38000004
	ds_read_b64 v[58:59], v4 offset:768                        // 00000000373C: D8EC0300 3A000004
	ds_read_b64 v[60:61], v4 offset:896                        // 000000003744: D8EC0380 3C000004
	s_waitcnt lgkmcnt(0)                                       // 00000000374C: BF8CC07F
	v_mov_b32_e32 v22, 0x358637bd                              // 000000003750: 7E2C02FF 358637BD
	v_mov_b32_e32 v23, 0x358637bd                              // 000000003758: 7E2E02FF 358637BD
	v_max3_f32 v22, |v46|, |v48|, v22                          // 000000003760: D1D30316 045A612E
	v_max3_f32 v23, |v47|, |v49|, v23                          // 000000003768: D1D30317 045E632F
	v_max3_f32 v22, |v50|, |v52|, v22                          // 000000003770: D1D30316 045A6932
	v_max3_f32 v23, |v51|, |v53|, v23                          // 000000003778: D1D30317 045E6B33
	v_max3_f32 v22, |v54|, |v56|, v22                          // 000000003780: D1D30316 045A7136
	v_max3_f32 v23, |v55|, |v57|, v23                          // 000000003788: D1D30317 045E7337
	v_max3_f32 v22, |v58|, |v60|, v22                          // 000000003790: D1D30316 045A793A
	v_max3_f32 v23, |v59|, |v61|, v23                          // 000000003798: D1D30317 045E7B3B
	ds_read_b64 v[46:47], v4 offset:1024                       // 0000000037A0: D8EC0400 2E000004
	ds_read_b64 v[48:49], v4 offset:1152                       // 0000000037A8: D8EC0480 30000004
	ds_read_b64 v[50:51], v4 offset:1280                       // 0000000037B0: D8EC0500 32000004
	ds_read_b64 v[52:53], v4 offset:1408                       // 0000000037B8: D8EC0580 34000004
	ds_read_b64 v[54:55], v4 offset:1536                       // 0000000037C0: D8EC0600 36000004
	ds_read_b64 v[56:57], v4 offset:1664                       // 0000000037C8: D8EC0680 38000004
	ds_read_b64 v[58:59], v4 offset:1792                       // 0000000037D0: D8EC0700 3A000004
	ds_read_b64 v[60:61], v4 offset:1920                       // 0000000037D8: D8EC0780 3C000004
	s_waitcnt lgkmcnt(0)                                       // 0000000037E0: BF8CC07F
	v_max3_f32 v22, |v46|, |v48|, v22                          // 0000000037E4: D1D30316 045A612E
	v_max3_f32 v23, |v47|, |v49|, v23                          // 0000000037EC: D1D30317 045E632F
	v_max3_f32 v22, |v50|, |v52|, v22                          // 0000000037F4: D1D30316 045A6932
	v_max3_f32 v23, |v51|, |v53|, v23                          // 0000000037FC: D1D30317 045E6B33
	v_max3_f32 v22, |v54|, |v56|, v22                          // 000000003804: D1D30316 045A7136
	v_max3_f32 v23, |v55|, |v57|, v23                          // 00000000380C: D1D30317 045E7337
	v_max3_f32 v22, |v58|, |v60|, v22                          // 000000003814: D1D30316 045A793A
	v_max3_f32 v23, |v59|, |v61|, v23                          // 00000000381C: D1D30317 045E7B3B
	v_mov_b32_e32 v42, 0x43700000                              // 000000003824: 7E5402FF 43700000
	v_rcp_f32_e32 v22, v22                                     // 00000000382C: 7E2C4516
	v_rcp_f32_e32 v23, v23                                     // 000000003830: 7E2E4517
	s_nop 1                                                    // 000000003834: BF800001
	v_mul_f32_e32 v22, v42, v22                                // 000000003838: 0A2C2D2A
	v_mul_f32_e32 v23, v42, v23                                // 00000000383C: 0A2E2F2A
	v_rcp_f32_e32 v24, v22                                     // 000000003840: 7E304516
	v_rcp_f32_e32 v25, v23                                     // 000000003844: 7E324517
	v_mov_b32_e32 v42, v22                                     // 000000003848: 7E540316
	v_mov_b32_e32 v43, v22                                     // 00000000384C: 7E560316
	v_mov_b32_e32 v44, v23                                     // 000000003850: 7E580317
	v_mov_b32_e32 v45, v23                                     // 000000003854: 7E5A0317
	v_pk_mul_f32 v[168:169], v[42:43], v[168:169]              // 000000003858: D3B140A8 1803512A
	v_pk_mul_f32 v[170:171], v[42:43], v[170:171]              // 000000003860: D3B140AA 1803552A
	v_cvt_pk_fp8_f32 v168, v168, v169                          // 000000003868: D2A200A8 000353A8
	v_cvt_pk_fp8_f32 v168, v170, v171 op_sel:[0,0,1]           // 000000003870: D2A240A8 000357AA
	v_pk_mul_f32 v[172:173], v[44:45], v[172:173]              // 000000003878: D3B140AC 1803592C
	v_pk_mul_f32 v[174:175], v[44:45], v[174:175]              // 000000003880: D3B140AE 18035D2C
	v_cvt_pk_fp8_f32 v169, v172, v173                          // 000000003888: D2A200A9 00035BAC
	v_cvt_pk_fp8_f32 v169, v174, v175 op_sel:[0,0,1]           // 000000003890: D2A240A9 00035FAE
	v_pk_mul_f32 v[176:177], v[42:43], v[176:177]              // 000000003898: D3B140B0 1803612A
	v_pk_mul_f32 v[178:179], v[42:43], v[178:179]              // 0000000038A0: D3B140B2 1803652A
	v_cvt_pk_fp8_f32 v170, v176, v177                          // 0000000038A8: D2A200AA 000363B0
	v_cvt_pk_fp8_f32 v170, v178, v179 op_sel:[0,0,1]           // 0000000038B0: D2A240AA 000367B2
	v_pk_mul_f32 v[180:181], v[44:45], v[180:181]              // 0000000038B8: D3B140B4 1803692C
	v_pk_mul_f32 v[182:183], v[44:45], v[182:183]              // 0000000038C0: D3B140B6 18036D2C
	v_cvt_pk_fp8_f32 v171, v180, v181                          // 0000000038C8: D2A200AB 00036BB4
	v_cvt_pk_fp8_f32 v171, v182, v183 op_sel:[0,0,1]           // 0000000038D0: D2A240AB 00036FB6
	v_pk_mul_f32 v[184:185], v[42:43], v[184:185]              // 0000000038D8: D3B140B8 1803712A
	v_pk_mul_f32 v[186:187], v[42:43], v[186:187]              // 0000000038E0: D3B140BA 1803752A
	v_cvt_pk_fp8_f32 v172, v184, v185                          // 0000000038E8: D2A200AC 000373B8
	v_cvt_pk_fp8_f32 v172, v186, v187 op_sel:[0,0,1]           // 0000000038F0: D2A240AC 000377BA
	v_pk_mul_f32 v[188:189], v[44:45], v[188:189]              // 0000000038F8: D3B140BC 1803792C
	v_pk_mul_f32 v[190:191], v[44:45], v[190:191]              // 000000003900: D3B140BE 18037D2C
	v_cvt_pk_fp8_f32 v173, v188, v189                          // 000000003908: D2A200AD 00037BBC
	v_cvt_pk_fp8_f32 v173, v190, v191 op_sel:[0,0,1]           // 000000003910: D2A240AD 00037FBE
	v_pk_mul_f32 v[192:193], v[42:43], v[192:193]              // 000000003918: D3B140C0 1803812A
	v_pk_mul_f32 v[194:195], v[42:43], v[194:195]              // 000000003920: D3B140C2 1803852A
	v_cvt_pk_fp8_f32 v174, v192, v193                          // 000000003928: D2A200AE 000383C0
	v_cvt_pk_fp8_f32 v174, v194, v195 op_sel:[0,0,1]           // 000000003930: D2A240AE 000387C2
	v_pk_mul_f32 v[196:197], v[44:45], v[196:197]              // 000000003938: D3B140C4 1803892C
	v_pk_mul_f32 v[198:199], v[44:45], v[198:199]              // 000000003940: D3B140C6 18038D2C
	v_cvt_pk_fp8_f32 v175, v196, v197                          // 000000003948: D2A200AF 00038BC4
	v_cvt_pk_fp8_f32 v175, v198, v199 op_sel:[0,0,1]           // 000000003950: D2A240AF 00038FC6
	ds_write_b32 v12, v168 offset:2048                         // 000000003958: D81A0800 0000A80C
	ds_write_b32 v12, v169 offset:6144                         // 000000003960: D81A1800 0000A90C
	ds_write_b32 v12, v170 offset:3072                         // 000000003968: D81A0C00 0000AA0C
	ds_write_b32 v12, v171 offset:7168                         // 000000003970: D81A1C00 0000AB0C
	ds_write_b32 v12, v172 offset:4096                         // 000000003978: D81A1000 0000AC0C
	ds_write_b32 v12, v173 offset:8192                         // 000000003980: D81A2000 0000AD0C
	ds_write_b32 v12, v174 offset:5120                         // 000000003988: D81A1400 0000AE0C
	ds_write_b32 v12, v175 offset:9216                         // 000000003990: D81A2400 0000AF0C
	s_waitcnt lgkmcnt(0)                                       // 000000003998: BF8CC07F
	s_barrier                                                  // 00000000399C: BF8A0000
	ds_read_b64 v[168:169], v13 offset:2048                    // 0000000039A0: D8EC0800 A800000D
	ds_read_b64 v[170:171], v13 offset:2176                    // 0000000039A8: D8EC0880 AA00000D
	ds_read_b64 v[172:173], v13 offset:3072                    // 0000000039B0: D8EC0C00 AC00000D
	ds_read_b64 v[174:175], v13 offset:3200                    // 0000000039B8: D8EC0C80 AE00000D
	ds_read_b64 v[176:177], v13 offset:4096                    // 0000000039C0: D8EC1000 B000000D
	ds_read_b64 v[178:179], v13 offset:4224                    // 0000000039C8: D8EC1080 B200000D
	ds_read_b64 v[180:181], v13 offset:5120                    // 0000000039D0: D8EC1400 B400000D
	ds_read_b64 v[182:183], v13 offset:5248                    // 0000000039D8: D8EC1480 B600000D
	ds_read_b64 v[184:185], v13 offset:6144                    // 0000000039E0: D8EC1800 B800000D
	ds_read_b64 v[186:187], v13 offset:6272                    // 0000000039E8: D8EC1880 BA00000D
	ds_read_b64 v[188:189], v13 offset:7168                    // 0000000039F0: D8EC1C00 BC00000D
	ds_read_b64 v[190:191], v13 offset:7296                    // 0000000039F8: D8EC1C80 BE00000D
	ds_read_b64 v[192:193], v13 offset:8192                    // 000000003A00: D8EC2000 C000000D
	ds_read_b64 v[194:195], v13 offset:8320                    // 000000003A08: D8EC2080 C200000D
	ds_read_b64 v[196:197], v13 offset:9216                    // 000000003A10: D8EC2400 C400000D
	ds_read_b64 v[198:199], v13 offset:9344                    // 000000003A18: D8EC2480 C600000D
	s_cmp_lt_i32 s5, 2                                         // 000000003A20: BF048205
	s_cbranch_scc0 label_1532                                  // 000000003A24: BF841168

0000000000003a28 <label_03CA>:
	v_rcp_f32_e32 v42, v24                                     // 000000003A28: 7E544518
	v_rcp_f32_e32 v44, v25                                     // 000000003A2C: 7E584519
	v_mov_b32_e32 v43, v42                                     // 000000003A30: 7E56032A
	v_mov_b32_e32 v45, v44                                     // 000000003A34: 7E5A032C
	v_pk_mul_f32 v[128:129], v[42:43], v[128:129]              // 000000003A38: D3B14080 1803012A
	v_pk_mul_f32 v[130:131], v[42:43], v[130:131]              // 000000003A40: D3B14082 1803052A
	v_pk_mul_f32 v[132:133], v[44:45], v[132:133]              // 000000003A48: D3B14084 1803092C
	v_pk_mul_f32 v[134:135], v[44:45], v[134:135]              // 000000003A50: D3B14086 18030D2C
	v_pk_mul_f32 v[136:137], v[42:43], v[136:137]              // 000000003A58: D3B14088 1803112A
	v_pk_mul_f32 v[138:139], v[42:43], v[138:139]              // 000000003A60: D3B1408A 1803152A
	v_pk_mul_f32 v[140:141], v[44:45], v[140:141]              // 000000003A68: D3B1408C 1803192C
	v_pk_mul_f32 v[142:143], v[44:45], v[142:143]              // 000000003A70: D3B1408E 18031D2C
	v_pk_mul_f32 v[144:145], v[42:43], v[144:145]              // 000000003A78: D3B14090 1803212A
	v_pk_mul_f32 v[146:147], v[42:43], v[146:147]              // 000000003A80: D3B14092 1803252A
	v_pk_mul_f32 v[148:149], v[44:45], v[148:149]              // 000000003A88: D3B14094 1803292C
	v_pk_mul_f32 v[150:151], v[44:45], v[150:151]              // 000000003A90: D3B14096 18032D2C
	v_pk_mul_f32 v[152:153], v[42:43], v[152:153]              // 000000003A98: D3B14098 1803312A
	v_pk_mul_f32 v[154:155], v[42:43], v[154:155]              // 000000003AA0: D3B1409A 1803352A
	v_pk_mul_f32 v[156:157], v[44:45], v[156:157]              // 000000003AA8: D3B1409C 1803392C
	v_pk_mul_f32 v[158:159], v[44:45], v[158:159]              // 000000003AB0: D3B1409E 18033D2C
	v_pk_mul_f32 v[160:161], v[42:43], v[160:161]              // 000000003AB8: D3B140A0 1803412A
	v_pk_mul_f32 v[162:163], v[42:43], v[162:163]              // 000000003AC0: D3B140A2 1803452A
	v_pk_mul_f32 v[164:165], v[44:45], v[164:165]              // 000000003AC8: D3B140A4 1803492C
	v_pk_mul_f32 v[166:167], v[44:45], v[166:167]              // 000000003AD0: D3B140A6 18034D2C
	s_waitcnt vmcnt(12) lgkmcnt(0)                             // 000000003AD8: BF8C007C
	s_barrier                                                  // 000000003ADC: BF8A0000
	v_mfma_f32_16x16x32_fp8_fp8 v[128:131], a[0:1], v[168:169], v[128:131]// 000000003AE0: D3F30080 0E035100
	v_mfma_f32_16x16x32_fp8_fp8 v[128:131], a[2:3], v[170:171], v[128:131]// 000000003AE8: D3F30080 0E035502
	buffer_load_dwordx4 a[80:83], v36, s[92:95], 0 offen       // 000000003AF0: E05C1000 80975024
	v_mfma_f32_16x16x32_fp8_fp8 v[128:131], a[4:5], v[172:173], v[128:131]// 000000003AF8: D3F30080 0E035904
	v_mfma_f32_16x16x32_fp8_fp8 v[128:131], a[6:7], v[174:175], v[128:131]// 000000003B00: D3F30080 0E035D06
	buffer_load_dword v28, s[20:23], 0 offen lds               // 000000003B08: E0511000 8005001C
	buffer_load_dword v28, s[20:23], 0 offen offset:256 lds    // 000000003B10: E0511100 8005001C
	s_add_u32 m0, 0x820, s51                                   // 000000003B18: 807C33FF 00000820
	v_mfma_f32_16x16x32_fp8_fp8 v[128:131], a[8:9], v[176:177], v[128:131]// 000000003B20: D3F30080 0E036108
	v_mfma_f32_16x16x32_fp8_fp8 v[128:131], a[10:11], v[178:179], v[128:131]// 000000003B28: D3F30080 0E03650A
	buffer_load_dwordx4 a[84:87], v36, s[92:95], 0 offen offset:1024// 000000003B30: E05C1400 80975424
	v_mfma_f32_16x16x32_fp8_fp8 v[128:131], a[12:13], v[180:181], v[128:131]// 000000003B38: D3F30080 0E03690C
	v_mfma_f32_16x16x32_fp8_fp8 v[128:131], a[14:15], v[182:183], v[128:131]// 000000003B40: D3F30080 0E036D0E
	buffer_load_dword v29, s[20:23], 0 offen lds               // 000000003B48: E0511000 8005001D
	buffer_load_dword v29, s[20:23], 0 offen offset:256 lds    // 000000003B50: E0511100 8005001D
	s_add_u32 m0, 0x1040, s51                                  // 000000003B58: 807C33FF 00001040
	v_mfma_f32_16x16x32_fp8_fp8 v[132:135], a[0:1], v[184:185], v[132:135]// 000000003B60: D3F30084 0E137100
	v_mfma_f32_16x16x32_fp8_fp8 v[132:135], a[2:3], v[186:187], v[132:135]// 000000003B68: D3F30084 0E137502
	buffer_load_dwordx4 a[88:91], v36, s[92:95], 0 offen offset:2048// 000000003B70: E05C1800 80975824
	v_mfma_f32_16x16x32_fp8_fp8 v[132:135], a[4:5], v[188:189], v[132:135]// 000000003B78: D3F30084 0E137904
	v_mfma_f32_16x16x32_fp8_fp8 v[132:135], a[6:7], v[190:191], v[132:135]// 000000003B80: D3F30084 0E137D06
	buffer_load_dword v30, s[20:23], 0 offen lds               // 000000003B88: E0511000 8005001E
	buffer_load_dword v30, s[20:23], 0 offen offset:256 lds    // 000000003B90: E0511100 8005001E
	s_add_u32 m0, 0x1860, s51                                  // 000000003B98: 807C33FF 00001860
	v_mfma_f32_16x16x32_fp8_fp8 v[132:135], a[8:9], v[192:193], v[132:135]// 000000003BA0: D3F30084 0E138108
	v_mfma_f32_16x16x32_fp8_fp8 v[132:135], a[10:11], v[194:195], v[132:135]// 000000003BA8: D3F30084 0E13850A
	buffer_load_dwordx4 a[92:95], v36, s[92:95], 0 offen offset:3072// 000000003BB0: E05C1C00 80975C24
	v_mfma_f32_16x16x32_fp8_fp8 v[132:135], a[12:13], v[196:197], v[132:135]// 000000003BB8: D3F30084 0E13890C
	v_mfma_f32_16x16x32_fp8_fp8 v[132:135], a[14:15], v[198:199], v[132:135]// 000000003BC0: D3F30084 0E138D0E
	buffer_load_dword v31, s[20:23], 0 offen lds               // 000000003BC8: E0511000 8005001F
	buffer_load_dword v31, s[20:23], 0 offen offset:256 lds    // 000000003BD0: E0511100 8005001F
	s_add_u32 m0, 0x2080, s51                                  // 000000003BD8: 807C33FF 00002080
	v_mfma_f32_16x16x32_fp8_fp8 v[136:139], a[16:17], v[168:169], v[136:139]// 000000003BE0: D3F30088 0E235110
	v_mfma_f32_16x16x32_fp8_fp8 v[136:139], a[18:19], v[170:171], v[136:139]// 000000003BE8: D3F30088 0E235512
	buffer_load_dwordx4 a[96:99], v37, s[92:95], 0 offen       // 000000003BF0: E05C1000 80976025
	v_mfma_f32_16x16x32_fp8_fp8 v[136:139], a[20:21], v[172:173], v[136:139]// 000000003BF8: D3F30088 0E235914
	v_mfma_f32_16x16x32_fp8_fp8 v[136:139], a[22:23], v[174:175], v[136:139]// 000000003C00: D3F30088 0E235D16
	buffer_load_dword v32, s[20:23], 0 offen lds               // 000000003C08: E0511000 80050020
	buffer_load_dword v32, s[20:23], 0 offen offset:256 lds    // 000000003C10: E0511100 80050020
	s_add_u32 m0, 0x28a0, s51                                  // 000000003C18: 807C33FF 000028A0
	v_mfma_f32_16x16x32_fp8_fp8 v[136:139], a[24:25], v[176:177], v[136:139]// 000000003C20: D3F30088 0E236118
	v_mfma_f32_16x16x32_fp8_fp8 v[136:139], a[26:27], v[178:179], v[136:139]// 000000003C28: D3F30088 0E23651A
	buffer_load_dwordx4 a[100:103], v37, s[92:95], 0 offen offset:1024// 000000003C30: E05C1400 80976425
	v_mfma_f32_16x16x32_fp8_fp8 v[136:139], a[28:29], v[180:181], v[136:139]// 000000003C38: D3F30088 0E23691C
	v_mfma_f32_16x16x32_fp8_fp8 v[136:139], a[30:31], v[182:183], v[136:139]// 000000003C40: D3F30088 0E236D1E
	buffer_load_dword v33, s[20:23], 0 offen lds               // 000000003C48: E0511000 80050021
	buffer_load_dword v33, s[20:23], 0 offen offset:256 lds    // 000000003C50: E0511100 80050021
	s_add_u32 m0, 0x30c0, s51                                  // 000000003C58: 807C33FF 000030C0
	v_mfma_f32_16x16x32_fp8_fp8 v[140:143], a[16:17], v[184:185], v[140:143]// 000000003C60: D3F3008C 0E337110
	v_mfma_f32_16x16x32_fp8_fp8 v[140:143], a[18:19], v[186:187], v[140:143]// 000000003C68: D3F3008C 0E337512
	buffer_load_dwordx4 a[104:107], v37, s[92:95], 0 offen offset:2048// 000000003C70: E05C1800 80976825
	v_mfma_f32_16x16x32_fp8_fp8 v[140:143], a[20:21], v[188:189], v[140:143]// 000000003C78: D3F3008C 0E337914
	v_mfma_f32_16x16x32_fp8_fp8 v[140:143], a[22:23], v[190:191], v[140:143]// 000000003C80: D3F3008C 0E337D16
	buffer_load_dword v34, s[20:23], 0 offen lds               // 000000003C88: E0511000 80050022
	buffer_load_dword v34, s[20:23], 0 offen offset:256 lds    // 000000003C90: E0511100 80050022
	s_add_u32 m0, 0x38e0, s51                                  // 000000003C98: 807C33FF 000038E0
	v_mfma_f32_16x16x32_fp8_fp8 v[140:143], a[24:25], v[192:193], v[140:143]// 000000003CA0: D3F3008C 0E338118
	v_mfma_f32_16x16x32_fp8_fp8 v[140:143], a[26:27], v[194:195], v[140:143]// 000000003CA8: D3F3008C 0E33851A
	buffer_load_dwordx4 a[108:111], v37, s[92:95], 0 offen offset:3072// 000000003CB0: E05C1C00 80976C25
	v_mfma_f32_16x16x32_fp8_fp8 v[140:143], a[28:29], v[196:197], v[140:143]// 000000003CB8: D3F3008C 0E33891C
	v_mfma_f32_16x16x32_fp8_fp8 v[140:143], a[30:31], v[198:199], v[140:143]// 000000003CC0: D3F3008C 0E338D1E
	buffer_load_dword v35, s[20:23], 0 offen lds               // 000000003CC8: E0511000 80050023
	buffer_load_dword v35, s[20:23], 0 offen offset:256 lds    // 000000003CD0: E0511100 80050023
	s_add_u32 m0, 0, s50                                       // 000000003CD8: 807C3280
	buffer_load_dword v15, v6, s[28:31], 0 offen               // 000000003CDC: E0501000 80070F06
	s_waitcnt vmcnt(33)                                        // 000000003CE4: BF8C8F71
	v_mfma_f32_16x16x32_fp8_fp8 v[144:147], a[32:33], v[168:169], v[144:147]// 000000003CE8: D3F30090 0E435120
	v_mfma_f32_16x16x32_fp8_fp8 v[144:147], a[34:35], v[170:171], v[144:147]// 000000003CF0: D3F30090 0E435522
	buffer_load_dwordx4 a[112:115], v38, s[92:95], 0 offen     // 000000003CF8: E05C1000 80977026
	v_mfma_f32_16x16x32_fp8_fp8 v[144:147], a[36:37], v[172:173], v[144:147]// 000000003D00: D3F30090 0E435924
	v_mfma_f32_16x16x32_fp8_fp8 v[144:147], a[38:39], v[174:175], v[144:147]// 000000003D08: D3F30090 0E435D26
	v_mfma_f32_16x16x32_fp8_fp8 v[144:147], a[40:41], v[176:177], v[144:147]// 000000003D10: D3F30090 0E436128
	v_mfma_f32_16x16x32_fp8_fp8 v[144:147], a[42:43], v[178:179], v[144:147]// 000000003D18: D3F30090 0E43652A
	buffer_load_dwordx4 a[116:119], v38, s[92:95], 0 offen offset:1024// 000000003D20: E05C1400 80977426
	v_mfma_f32_16x16x32_fp8_fp8 v[144:147], a[44:45], v[180:181], v[144:147]// 000000003D28: D3F30090 0E43692C
	v_mfma_f32_16x16x32_fp8_fp8 v[144:147], a[46:47], v[182:183], v[144:147]// 000000003D30: D3F30090 0E436D2E
	v_mfma_f32_16x16x32_fp8_fp8 v[148:151], a[32:33], v[184:185], v[148:151]// 000000003D38: D3F30094 0E537120
	v_mfma_f32_16x16x32_fp8_fp8 v[148:151], a[34:35], v[186:187], v[148:151]// 000000003D40: D3F30094 0E537522
	buffer_load_dwordx4 a[120:123], v38, s[92:95], 0 offen offset:2048// 000000003D48: E05C1800 80977826
	v_mfma_f32_16x16x32_fp8_fp8 v[148:151], a[36:37], v[188:189], v[148:151]// 000000003D50: D3F30094 0E537924
	v_mfma_f32_16x16x32_fp8_fp8 v[148:151], a[38:39], v[190:191], v[148:151]// 000000003D58: D3F30094 0E537D26
	v_mfma_f32_16x16x32_fp8_fp8 v[148:151], a[40:41], v[192:193], v[148:151]// 000000003D60: D3F30094 0E538128
	v_mfma_f32_16x16x32_fp8_fp8 v[148:151], a[42:43], v[194:195], v[148:151]// 000000003D68: D3F30094 0E53852A
	buffer_load_dwordx4 a[124:127], v38, s[92:95], 0 offen offset:3072// 000000003D70: E05C1C00 80977C26
	v_mfma_f32_16x16x32_fp8_fp8 v[148:151], a[44:45], v[196:197], v[148:151]// 000000003D78: D3F30094 0E53892C
	v_mfma_f32_16x16x32_fp8_fp8 v[148:151], a[46:47], v[198:199], v[148:151]// 000000003D80: D3F30094 0E538D2E
	s_waitcnt vmcnt(33)                                        // 000000003D88: BF8C8F71
	v_mfma_f32_16x16x32_fp8_fp8 v[152:155], a[48:49], v[168:169], v[152:155]// 000000003D8C: D3F30098 0E635130
	v_mfma_f32_16x16x32_fp8_fp8 v[152:155], a[50:51], v[170:171], v[152:155]// 000000003D94: D3F30098 0E635532
	buffer_load_dwordx4 a[128:131], v39, s[92:95], 0 offen     // 000000003D9C: E05C1000 80978027
	v_mfma_f32_16x16x32_fp8_fp8 v[152:155], a[52:53], v[172:173], v[152:155]// 000000003DA4: D3F30098 0E635934
	v_mfma_f32_16x16x32_fp8_fp8 v[152:155], a[54:55], v[174:175], v[152:155]// 000000003DAC: D3F30098 0E635D36
	v_mfma_f32_16x16x32_fp8_fp8 v[152:155], a[56:57], v[176:177], v[152:155]// 000000003DB4: D3F30098 0E636138
	v_mfma_f32_16x16x32_fp8_fp8 v[152:155], a[58:59], v[178:179], v[152:155]// 000000003DBC: D3F30098 0E63653A
	buffer_load_dwordx4 a[132:135], v39, s[92:95], 0 offen offset:1024// 000000003DC4: E05C1400 80978427
	v_mfma_f32_16x16x32_fp8_fp8 v[152:155], a[60:61], v[180:181], v[152:155]// 000000003DCC: D3F30098 0E63693C
	v_mfma_f32_16x16x32_fp8_fp8 v[152:155], a[62:63], v[182:183], v[152:155]// 000000003DD4: D3F30098 0E636D3E
	v_mfma_f32_16x16x32_fp8_fp8 v[156:159], a[48:49], v[184:185], v[156:159]// 000000003DDC: D3F3009C 0E737130
	v_mfma_f32_16x16x32_fp8_fp8 v[156:159], a[50:51], v[186:187], v[156:159]// 000000003DE4: D3F3009C 0E737532
	buffer_load_dwordx4 a[136:139], v39, s[92:95], 0 offen offset:2048// 000000003DEC: E05C1800 80978827
	v_mfma_f32_16x16x32_fp8_fp8 v[156:159], a[52:53], v[188:189], v[156:159]// 000000003DF4: D3F3009C 0E737934
	v_mfma_f32_16x16x32_fp8_fp8 v[156:159], a[54:55], v[190:191], v[156:159]// 000000003DFC: D3F3009C 0E737D36
	v_mfma_f32_16x16x32_fp8_fp8 v[156:159], a[56:57], v[192:193], v[156:159]// 000000003E04: D3F3009C 0E738138
	v_mfma_f32_16x16x32_fp8_fp8 v[156:159], a[58:59], v[194:195], v[156:159]// 000000003E0C: D3F3009C 0E73853A
	buffer_load_dwordx4 a[140:143], v39, s[92:95], 0 offen offset:3072// 000000003E14: E05C1C00 80978C27
	v_mfma_f32_16x16x32_fp8_fp8 v[156:159], a[60:61], v[196:197], v[156:159]// 000000003E1C: D3F3009C 0E73893C
	v_mfma_f32_16x16x32_fp8_fp8 v[156:159], a[62:63], v[198:199], v[156:159]// 000000003E24: D3F3009C 0E738D3E
	s_waitcnt vmcnt(33)                                        // 000000003E2C: BF8C8F71
	v_mfma_f32_16x16x32_fp8_fp8 v[160:163], a[64:65], v[168:169], v[160:163]// 000000003E30: D3F300A0 0E835140
	v_mfma_f32_16x16x32_fp8_fp8 v[160:163], a[66:67], v[170:171], v[160:163]// 000000003E38: D3F300A0 0E835542
	buffer_load_dwordx4 a[144:147], v40, s[92:95], 0 offen     // 000000003E40: E05C1000 80979028
	v_mfma_f32_16x16x32_fp8_fp8 v[160:163], a[68:69], v[172:173], v[160:163]// 000000003E48: D3F300A0 0E835944
	v_mfma_f32_16x16x32_fp8_fp8 v[160:163], a[70:71], v[174:175], v[160:163]// 000000003E50: D3F300A0 0E835D46
	v_mfma_f32_16x16x32_fp8_fp8 v[160:163], a[72:73], v[176:177], v[160:163]// 000000003E58: D3F300A0 0E836148
	v_mfma_f32_16x16x32_fp8_fp8 v[160:163], a[74:75], v[178:179], v[160:163]// 000000003E60: D3F300A0 0E83654A
	buffer_load_dwordx4 a[148:151], v40, s[92:95], 0 offen offset:1024// 000000003E68: E05C1400 80979428
	v_mfma_f32_16x16x32_fp8_fp8 v[160:163], a[76:77], v[180:181], v[160:163]// 000000003E70: D3F300A0 0E83694C
	v_mfma_f32_16x16x32_fp8_fp8 v[160:163], a[78:79], v[182:183], v[160:163]// 000000003E78: D3F300A0 0E836D4E
	v_mfma_f32_16x16x32_fp8_fp8 v[164:167], a[64:65], v[184:185], v[164:167]// 000000003E80: D3F300A4 0E937140
	v_mfma_f32_16x16x32_fp8_fp8 v[164:167], a[66:67], v[186:187], v[164:167]// 000000003E88: D3F300A4 0E937542
	buffer_load_dwordx4 a[152:155], v40, s[92:95], 0 offen offset:2048// 000000003E90: E05C1800 80979828
	v_mfma_f32_16x16x32_fp8_fp8 v[164:167], a[68:69], v[188:189], v[164:167]// 000000003E98: D3F300A4 0E937944
	v_mfma_f32_16x16x32_fp8_fp8 v[164:167], a[70:71], v[190:191], v[164:167]// 000000003EA0: D3F300A4 0E937D46
	v_mfma_f32_16x16x32_fp8_fp8 v[164:167], a[72:73], v[192:193], v[164:167]// 000000003EA8: D3F300A4 0E938148
	v_mfma_f32_16x16x32_fp8_fp8 v[164:167], a[74:75], v[194:195], v[164:167]// 000000003EB0: D3F300A4 0E93854A
	buffer_load_dwordx4 a[156:159], v40, s[92:95], 0 offen offset:3072// 000000003EB8: E05C1C00 80979C28
	v_mfma_f32_16x16x32_fp8_fp8 v[164:167], a[76:77], v[196:197], v[164:167]// 000000003EC0: D3F300A4 0E93894C
	v_mfma_f32_16x16x32_fp8_fp8 v[164:167], a[78:79], v[198:199], v[164:167]// 000000003EC8: D3F300A4 0E938D4E
	v_mov_b32_e32 v42, v24                                     // 000000003ED0: 7E540318
	v_mov_b32_e32 v44, v25                                     // 000000003ED4: 7E580319
	v_mov_b32_e32 v43, v42                                     // 000000003ED8: 7E56032A
	v_mov_b32_e32 v45, v44                                     // 000000003EDC: 7E5A032C
	v_pk_mul_f32 v[128:129], v[42:43], v[128:129]              // 000000003EE0: D3B14080 1803012A
	v_pk_mul_f32 v[130:131], v[42:43], v[130:131]              // 000000003EE8: D3B14082 1803052A
	v_pk_mul_f32 v[132:133], v[44:45], v[132:133]              // 000000003EF0: D3B14084 1803092C
	v_pk_mul_f32 v[134:135], v[44:45], v[134:135]              // 000000003EF8: D3B14086 18030D2C
	v_pk_mul_f32 v[136:137], v[42:43], v[136:137]              // 000000003F00: D3B14088 1803112A
	v_pk_mul_f32 v[138:139], v[42:43], v[138:139]              // 000000003F08: D3B1408A 1803152A
	v_pk_mul_f32 v[140:141], v[44:45], v[140:141]              // 000000003F10: D3B1408C 1803192C
	v_pk_mul_f32 v[142:143], v[44:45], v[142:143]              // 000000003F18: D3B1408E 18031D2C
	v_pk_mul_f32 v[144:145], v[42:43], v[144:145]              // 000000003F20: D3B14090 1803212A
	v_pk_mul_f32 v[146:147], v[42:43], v[146:147]              // 000000003F28: D3B14092 1803252A
	v_pk_mul_f32 v[148:149], v[44:45], v[148:149]              // 000000003F30: D3B14094 1803292C
	v_pk_mul_f32 v[150:151], v[44:45], v[150:151]              // 000000003F38: D3B14096 18032D2C
	v_pk_mul_f32 v[152:153], v[42:43], v[152:153]              // 000000003F40: D3B14098 1803312A
	v_pk_mul_f32 v[154:155], v[42:43], v[154:155]              // 000000003F48: D3B1409A 1803352A
	v_pk_mul_f32 v[156:157], v[44:45], v[156:157]              // 000000003F50: D3B1409C 1803392C
	v_pk_mul_f32 v[158:159], v[44:45], v[158:159]              // 000000003F58: D3B1409E 18033D2C
	v_pk_mul_f32 v[160:161], v[42:43], v[160:161]              // 000000003F60: D3B140A0 1803412A
	v_pk_mul_f32 v[162:163], v[42:43], v[162:163]              // 000000003F68: D3B140A2 1803452A
	v_pk_mul_f32 v[164:165], v[44:45], v[164:165]              // 000000003F70: D3B140A4 1803492C
	v_pk_mul_f32 v[166:167], v[44:45], v[166:167]              // 000000003F78: D3B140A6 18034D2C
	v_rcp_f32_e32 v42, v24                                     // 000000003F80: 7E544518
	v_rcp_f32_e32 v44, v25                                     // 000000003F84: 7E584519
	v_mov_b32_e32 v43, v42                                     // 000000003F88: 7E56032A
	v_mov_b32_e32 v45, v44                                     // 000000003F8C: 7E5A032C
	v_pk_mul_f32 v[64:65], v[42:43], v[64:65]                  // 000000003F90: D3B14040 1802812A
	v_pk_mul_f32 v[66:67], v[42:43], v[66:67]                  // 000000003F98: D3B14042 1802852A
	v_pk_mul_f32 v[68:69], v[44:45], v[68:69]                  // 000000003FA0: D3B14044 1802892C
	v_pk_mul_f32 v[70:71], v[44:45], v[70:71]                  // 000000003FA8: D3B14046 18028D2C
	v_pk_mul_f32 v[72:73], v[42:43], v[72:73]                  // 000000003FB0: D3B14048 1802912A
	v_pk_mul_f32 v[74:75], v[42:43], v[74:75]                  // 000000003FB8: D3B1404A 1802952A
	v_pk_mul_f32 v[76:77], v[44:45], v[76:77]                  // 000000003FC0: D3B1404C 1802992C
	v_pk_mul_f32 v[78:79], v[44:45], v[78:79]                  // 000000003FC8: D3B1404E 18029D2C
	v_pk_mul_f32 v[80:81], v[42:43], v[80:81]                  // 000000003FD0: D3B14050 1802A12A
	v_pk_mul_f32 v[82:83], v[42:43], v[82:83]                  // 000000003FD8: D3B14052 1802A52A
	v_pk_mul_f32 v[84:85], v[44:45], v[84:85]                  // 000000003FE0: D3B14054 1802A92C
	v_pk_mul_f32 v[86:87], v[44:45], v[86:87]                  // 000000003FE8: D3B14056 1802AD2C
	v_pk_mul_f32 v[88:89], v[42:43], v[88:89]                  // 000000003FF0: D3B14058 1802B12A
	v_pk_mul_f32 v[90:91], v[42:43], v[90:91]                  // 000000003FF8: D3B1405A 1802B52A
	v_pk_mul_f32 v[92:93], v[44:45], v[92:93]                  // 000000004000: D3B1405C 1802B92C
	v_pk_mul_f32 v[94:95], v[44:45], v[94:95]                  // 000000004008: D3B1405E 1802BD2C
	v_pk_mul_f32 v[96:97], v[42:43], v[96:97]                  // 000000004010: D3B14060 1802C12A
	v_pk_mul_f32 v[98:99], v[42:43], v[98:99]                  // 000000004018: D3B14062 1802C52A
	v_pk_mul_f32 v[100:101], v[44:45], v[100:101]              // 000000004020: D3B14064 1802C92C
	v_pk_mul_f32 v[102:103], v[44:45], v[102:103]              // 000000004028: D3B14066 1802CD2C
	s_waitcnt vmcnt(12)                                        // 000000004030: BF8C0F7C
	s_barrier                                                  // 000000004034: BF8A0000
	v_mfma_f32_16x16x32_fp8_fp8 v[64:67], a[80:81], v[168:169], v[64:67]// 000000004038: D3F30040 0D035150
	ds_read_b64 v[200:201], v2 offset:18688                    // 000000004040: D8EC4900 C8000002
	ds_read_b64 v[204:205], v2 offset:27008                    // 000000004048: D8EC6980 CC000002
	v_mfma_f32_16x16x32_fp8_fp8 v[64:67], a[82:83], v[170:171], v[64:67]// 000000004050: D3F30040 0D035552
	buffer_load_dwordx4 a[0:3], v36, s[24:27], 0 offen         // 000000004058: E05C1000 80860024
	v_mfma_f32_16x16x32_fp8_fp8 v[64:67], a[84:85], v[172:173], v[64:67]// 000000004060: D3F30040 0D035954
	ds_read_b64 v[208:209], v2 offset:18816                    // 000000004068: D8EC4980 D0000002
	ds_read_b64 v[212:213], v2 offset:27136                    // 000000004070: D8EC6A00 D4000002
	v_mfma_f32_16x16x32_fp8_fp8 v[64:67], a[86:87], v[174:175], v[64:67]// 000000004078: D3F30040 0D035D56
	v_mfma_f32_16x16x32_fp8_fp8 v[64:67], a[88:89], v[176:177], v[64:67]// 000000004080: D3F30040 0D036158
	ds_read_b64 v[216:217], v2 offset:18944                    // 000000004088: D8EC4A00 D8000002
	ds_read_b64 v[220:221], v2 offset:27264                    // 000000004090: D8EC6A80 DC000002
	v_mfma_f32_16x16x32_fp8_fp8 v[64:67], a[90:91], v[178:179], v[64:67]// 000000004098: D3F30040 0D03655A
	buffer_load_dwordx4 a[4:7], v36, s[24:27], 0 offen offset:1024// 0000000040A0: E05C1400 80860424
	v_mfma_f32_16x16x32_fp8_fp8 v[64:67], a[92:93], v[180:181], v[64:67]// 0000000040A8: D3F30040 0D03695C
	ds_read_b64 v[224:225], v2 offset:19072                    // 0000000040B0: D8EC4A80 E0000002
	ds_read_b64 v[228:229], v2 offset:27392                    // 0000000040B8: D8EC6B00 E4000002
	v_mfma_f32_16x16x32_fp8_fp8 v[64:67], a[94:95], v[182:183], v[64:67]// 0000000040C0: D3F30040 0D036D5E
	s_waitcnt lgkmcnt(4)                                       // 0000000040C8: BF8CC47F
	v_and_b32_e32 v203, 0xffff0000, v201                       // 0000000040CC: 279792FF FFFF0000
	v_lshlrev_b32_e32 v202, 16, v201                           // 0000000040D4: 25959290
	v_and_b32_e32 v201, 0xffff0000, v200                       // 0000000040D8: 279390FF FFFF0000
	v_lshlrev_b32_e32 v200, 16, v200                           // 0000000040E0: 25919090
	v_and_b32_e32 v207, 0xffff0000, v205                       // 0000000040E4: 279F9AFF FFFF0000
	v_lshlrev_b32_e32 v206, 16, v205                           // 0000000040EC: 259D9A90
	v_and_b32_e32 v205, 0xffff0000, v204                       // 0000000040F0: 279B98FF FFFF0000
	v_lshlrev_b32_e32 v204, 16, v204                           // 0000000040F8: 25999890
	v_and_b32_e32 v211, 0xffff0000, v209                       // 0000000040FC: 27A7A2FF FFFF0000
	v_lshlrev_b32_e32 v210, 16, v209                           // 000000004104: 25A5A290
	v_and_b32_e32 v209, 0xffff0000, v208                       // 000000004108: 27A3A0FF FFFF0000
	v_lshlrev_b32_e32 v208, 16, v208                           // 000000004110: 25A1A090
	v_and_b32_e32 v215, 0xffff0000, v213                       // 000000004114: 27AFAAFF FFFF0000
	v_lshlrev_b32_e32 v214, 16, v213                           // 00000000411C: 25ADAA90
	v_and_b32_e32 v213, 0xffff0000, v212                       // 000000004120: 27ABA8FF FFFF0000
	v_lshlrev_b32_e32 v212, 16, v212                           // 000000004128: 25A9A890
	v_mul_f32_dpp v200, v15, v200 row_newbcast:0 row_mask:0xf bank_mask:0xf// 00000000412C: 0B9190FA FF01500F
	v_mul_f32_dpp v201, v15, v201 row_newbcast:1 row_mask:0xf bank_mask:0xf// 000000004134: 0B9392FA FF01510F
	v_mul_f32_dpp v202, v15, v202 row_newbcast:2 row_mask:0xf bank_mask:0xf// 00000000413C: 0B9594FA FF01520F
	v_mul_f32_dpp v203, v15, v203 row_newbcast:3 row_mask:0xf bank_mask:0xf// 000000004144: 0B9796FA FF01530F
	v_mul_f32_dpp v204, v15, v204 row_newbcast:0 row_mask:0xf bank_mask:0xf// 00000000414C: 0B9998FA FF01500F
	v_mul_f32_dpp v205, v15, v205 row_newbcast:1 row_mask:0xf bank_mask:0xf// 000000004154: 0B9B9AFA FF01510F
	v_mul_f32_dpp v206, v15, v206 row_newbcast:2 row_mask:0xf bank_mask:0xf// 00000000415C: 0B9D9CFA FF01520F
	v_mul_f32_dpp v207, v15, v207 row_newbcast:3 row_mask:0xf bank_mask:0xf// 000000004164: 0B9F9EFA FF01530F
	v_mul_f32_dpp v208, v15, v208 row_newbcast:4 row_mask:0xf bank_mask:0xf// 00000000416C: 0BA1A0FA FF01540F
	v_mul_f32_dpp v209, v15, v209 row_newbcast:5 row_mask:0xf bank_mask:0xf// 000000004174: 0BA3A2FA FF01550F
	v_mul_f32_dpp v210, v15, v210 row_newbcast:6 row_mask:0xf bank_mask:0xf// 00000000417C: 0BA5A4FA FF01560F
	v_mul_f32_dpp v211, v15, v211 row_newbcast:7 row_mask:0xf bank_mask:0xf// 000000004184: 0BA7A6FA FF01570F
	v_mul_f32_dpp v212, v15, v212 row_newbcast:4 row_mask:0xf bank_mask:0xf// 00000000418C: 0BA9A8FA FF01540F
	v_mul_f32_dpp v213, v15, v213 row_newbcast:5 row_mask:0xf bank_mask:0xf// 000000004194: 0BABAAFA FF01550F
	v_mul_f32_dpp v214, v15, v214 row_newbcast:6 row_mask:0xf bank_mask:0xf// 00000000419C: 0BADACFA FF01560F
	v_mul_f32_dpp v215, v15, v215 row_newbcast:7 row_mask:0xf bank_mask:0xf// 0000000041A4: 0BAFAEFA FF01570F
	v_mfma_f32_16x16x32_fp8_fp8 v[68:71], a[80:81], v[184:185], v[68:71]// 0000000041AC: D3F30044 0D137150
	v_mfma_f32_16x16x32_fp8_fp8 v[68:71], a[82:83], v[186:187], v[68:71]// 0000000041B4: D3F30044 0D137552
	buffer_load_dwordx4 a[8:11], v36, s[24:27], 0 offen offset:2048// 0000000041BC: E05C1800 80860824
	v_mfma_f32_16x16x32_fp8_fp8 v[68:71], a[84:85], v[188:189], v[68:71]// 0000000041C4: D3F30044 0D137954
	v_mfma_f32_16x16x32_fp8_fp8 v[68:71], a[86:87], v[190:191], v[68:71]// 0000000041CC: D3F30044 0D137D56
	v_mfma_f32_16x16x32_fp8_fp8 v[68:71], a[88:89], v[192:193], v[68:71]// 0000000041D4: D3F30044 0D138158
	v_mfma_f32_16x16x32_fp8_fp8 v[68:71], a[90:91], v[194:195], v[68:71]// 0000000041DC: D3F30044 0D13855A
	buffer_load_dwordx4 a[12:15], v36, s[24:27], 0 offen offset:3072// 0000000041E4: E05C1C00 80860C24
	v_mfma_f32_16x16x32_fp8_fp8 v[68:71], a[92:93], v[196:197], v[68:71]// 0000000041EC: D3F30044 0D13895C
	v_mfma_f32_16x16x32_fp8_fp8 v[68:71], a[94:95], v[198:199], v[68:71]// 0000000041F4: D3F30044 0D138D5E
	s_waitcnt lgkmcnt(0)                                       // 0000000041FC: BF8CC07F
	v_and_b32_e32 v219, 0xffff0000, v217                       // 000000004200: 27B7B2FF FFFF0000
	v_lshlrev_b32_e32 v218, 16, v217                           // 000000004208: 25B5B290
	v_and_b32_e32 v217, 0xffff0000, v216                       // 00000000420C: 27B3B0FF FFFF0000
	v_lshlrev_b32_e32 v216, 16, v216                           // 000000004214: 25B1B090
	v_and_b32_e32 v223, 0xffff0000, v221                       // 000000004218: 27BFBAFF FFFF0000
	v_lshlrev_b32_e32 v222, 16, v221                           // 000000004220: 25BDBA90
	v_and_b32_e32 v221, 0xffff0000, v220                       // 000000004224: 27BBB8FF FFFF0000
	v_lshlrev_b32_e32 v220, 16, v220                           // 00000000422C: 25B9B890
	v_and_b32_e32 v227, 0xffff0000, v225                       // 000000004230: 27C7C2FF FFFF0000
	v_lshlrev_b32_e32 v226, 16, v225                           // 000000004238: 25C5C290
	v_and_b32_e32 v225, 0xffff0000, v224                       // 00000000423C: 27C3C0FF FFFF0000
	v_lshlrev_b32_e32 v224, 16, v224                           // 000000004244: 25C1C090
	v_and_b32_e32 v231, 0xffff0000, v229                       // 000000004248: 27CFCAFF FFFF0000
	v_lshlrev_b32_e32 v230, 16, v229                           // 000000004250: 25CDCA90
	v_and_b32_e32 v229, 0xffff0000, v228                       // 000000004254: 27CBC8FF FFFF0000
	v_lshlrev_b32_e32 v228, 16, v228                           // 00000000425C: 25C9C890
	v_mul_f32_dpp v216, v15, v216 row_newbcast:8 row_mask:0xf bank_mask:0xf// 000000004260: 0BB1B0FA FF01580F
	v_mul_f32_dpp v217, v15, v217 row_newbcast:9 row_mask:0xf bank_mask:0xf// 000000004268: 0BB3B2FA FF01590F
	v_mul_f32_dpp v218, v15, v218 row_newbcast:10 row_mask:0xf bank_mask:0xf// 000000004270: 0BB5B4FA FF015A0F
	v_mul_f32_dpp v219, v15, v219 row_newbcast:11 row_mask:0xf bank_mask:0xf// 000000004278: 0BB7B6FA FF015B0F
	v_mul_f32_dpp v220, v15, v220 row_newbcast:8 row_mask:0xf bank_mask:0xf// 000000004280: 0BB9B8FA FF01580F
	v_mul_f32_dpp v221, v15, v221 row_newbcast:9 row_mask:0xf bank_mask:0xf// 000000004288: 0BBBBAFA FF01590F
	v_mul_f32_dpp v222, v15, v222 row_newbcast:10 row_mask:0xf bank_mask:0xf// 000000004290: 0BBDBCFA FF015A0F
	v_mul_f32_dpp v223, v15, v223 row_newbcast:11 row_mask:0xf bank_mask:0xf// 000000004298: 0BBFBEFA FF015B0F
	v_mul_f32_dpp v224, v15, v224 row_newbcast:12 row_mask:0xf bank_mask:0xf// 0000000042A0: 0BC1C0FA FF015C0F
	v_mul_f32_dpp v225, v15, v225 row_newbcast:13 row_mask:0xf bank_mask:0xf// 0000000042A8: 0BC3C2FA FF015D0F
	v_mul_f32_dpp v226, v15, v226 row_newbcast:14 row_mask:0xf bank_mask:0xf// 0000000042B0: 0BC5C4FA FF015E0F
	v_mul_f32_dpp v227, v15, v227 row_newbcast:15 row_mask:0xf bank_mask:0xf// 0000000042B8: 0BC7C6FA FF015F0F
	v_mul_f32_dpp v228, v15, v228 row_newbcast:12 row_mask:0xf bank_mask:0xf// 0000000042C0: 0BC9C8FA FF015C0F
	v_mul_f32_dpp v229, v15, v229 row_newbcast:13 row_mask:0xf bank_mask:0xf// 0000000042C8: 0BCBCAFA FF015D0F
	v_mul_f32_dpp v230, v15, v230 row_newbcast:14 row_mask:0xf bank_mask:0xf// 0000000042D0: 0BCDCCFA FF015E0F
	v_mul_f32_dpp v231, v15, v231 row_newbcast:15 row_mask:0xf bank_mask:0xf// 0000000042D8: 0BCFCEFA FF015F0F
	v_mfma_f32_16x16x32_fp8_fp8 v[72:75], a[96:97], v[168:169], v[72:75]// 0000000042E0: D3F30048 0D235160
	v_mfma_f32_16x16x32_fp8_fp8 v[72:75], a[98:99], v[170:171], v[72:75]// 0000000042E8: D3F30048 0D235562
	buffer_load_dwordx4 a[16:19], v37, s[24:27], 0 offen       // 0000000042F0: E05C1000 80861025
	v_mov_b32_e32 v46, 0x358637bd                              // 0000000042F8: 7E5C02FF 358637BD
	v_mov_b32_e32 v47, 0x358637bd                              // 000000004300: 7E5E02FF 358637BD
	v_max3_f32 v46, |v200|, |v201|, v46                        // 000000004308: D1D3032E 04BB93C8
	v_max3_f32 v46, |v202|, |v203|, v46                        // 000000004310: D1D3032E 04BB97CA
	v_max3_f32 v47, |v204|, |v205|, v47                        // 000000004318: D1D3032F 04BF9BCC
	v_max3_f32 v47, |v206|, |v207|, v47                        // 000000004320: D1D3032F 04BF9FCE
	v_max3_f32 v46, |v208|, |v209|, v46                        // 000000004328: D1D3032E 04BBA3D0
	v_max3_f32 v46, |v210|, |v211|, v46                        // 000000004330: D1D3032E 04BBA7D2
	v_max3_f32 v47, |v212|, |v213|, v47                        // 000000004338: D1D3032F 04BFABD4
	v_max3_f32 v47, |v214|, |v215|, v47                        // 000000004340: D1D3032F 04BFAFD6
	v_max3_f32 v46, |v216|, |v217|, v46                        // 000000004348: D1D3032E 04BBB3D8
	v_max3_f32 v46, |v218|, |v219|, v46                        // 000000004350: D1D3032E 04BBB7DA
	v_max3_f32 v47, |v220|, |v221|, v47                        // 000000004358: D1D3032F 04BFBBDC
	v_max3_f32 v47, |v222|, |v223|, v47                        // 000000004360: D1D3032F 04BFBFDE
	v_max3_f32 v46, |v224|, |v225|, v46                        // 000000004368: D1D3032E 04BBC3E0
	v_max3_f32 v46, |v226|, |v227|, v46                        // 000000004370: D1D3032E 04BBC7E2
	v_max3_f32 v47, |v228|, |v229|, v47                        // 000000004378: D1D3032F 04BFCBE4
	v_max3_f32 v47, |v230|, |v231|, v47                        // 000000004380: D1D3032F 04BFCFE6
	v_mfma_f32_16x16x32_fp8_fp8 v[72:75], a[100:101], v[172:173], v[72:75]// 000000004388: D3F30048 0D235964
	ds_write_b64 v3, v[46:47]                                  // 000000004390: D89A0000 00002E03
	v_mfma_f32_16x16x32_fp8_fp8 v[72:75], a[102:103], v[174:175], v[72:75]// 000000004398: D3F30048 0D235D66
	v_mfma_f32_16x16x32_fp8_fp8 v[72:75], a[104:105], v[176:177], v[72:75]// 0000000043A0: D3F30048 0D236168
	v_mfma_f32_16x16x32_fp8_fp8 v[72:75], a[106:107], v[178:179], v[72:75]// 0000000043A8: D3F30048 0D23656A
	buffer_load_dwordx4 a[20:23], v37, s[24:27], 0 offen offset:1024// 0000000043B0: E05C1400 80861425
	s_waitcnt lgkmcnt(0)                                       // 0000000043B8: BF8CC07F
	s_barrier                                                  // 0000000043BC: BF8A0000
	v_mfma_f32_16x16x32_fp8_fp8 v[72:75], a[108:109], v[180:181], v[72:75]// 0000000043C0: D3F30048 0D23696C
	ds_read_b64 v[46:47], v4                                   // 0000000043C8: D8EC0000 2E000004
	ds_read_b64 v[48:49], v4 offset:128                        // 0000000043D0: D8EC0080 30000004
	v_mfma_f32_16x16x32_fp8_fp8 v[72:75], a[110:111], v[182:183], v[72:75]// 0000000043D8: D3F30048 0D236D6E
	v_mfma_f32_16x16x32_fp8_fp8 v[76:79], a[96:97], v[184:185], v[76:79]// 0000000043E0: D3F3004C 0D337160
	ds_read_b64 v[50:51], v4 offset:256                        // 0000000043E8: D8EC0100 32000004
	ds_read_b64 v[52:53], v4 offset:384                        // 0000000043F0: D8EC0180 34000004
	v_mfma_f32_16x16x32_fp8_fp8 v[76:79], a[98:99], v[186:187], v[76:79]// 0000000043F8: D3F3004C 0D337562
	buffer_load_dwordx4 a[24:27], v37, s[24:27], 0 offen offset:2048// 000000004400: E05C1800 80861825
	v_mfma_f32_16x16x32_fp8_fp8 v[76:79], a[100:101], v[188:189], v[76:79]// 000000004408: D3F3004C 0D337964
	ds_read_b64 v[54:55], v4 offset:512                        // 000000004410: D8EC0200 36000004
	ds_read_b64 v[56:57], v4 offset:640                        // 000000004418: D8EC0280 38000004
	v_mfma_f32_16x16x32_fp8_fp8 v[76:79], a[102:103], v[190:191], v[76:79]// 000000004420: D3F3004C 0D337D66
	v_mfma_f32_16x16x32_fp8_fp8 v[76:79], a[104:105], v[192:193], v[76:79]// 000000004428: D3F3004C 0D338168
	ds_read_b64 v[58:59], v4 offset:768                        // 000000004430: D8EC0300 3A000004
	ds_read_b64 v[60:61], v4 offset:896                        // 000000004438: D8EC0380 3C000004
	v_mfma_f32_16x16x32_fp8_fp8 v[76:79], a[106:107], v[194:195], v[76:79]// 000000004440: D3F3004C 0D33856A
	buffer_load_dwordx4 a[28:31], v37, s[24:27], 0 offen offset:3072// 000000004448: E05C1C00 80861C25
	v_mfma_f32_16x16x32_fp8_fp8 v[76:79], a[108:109], v[196:197], v[76:79]// 000000004450: D3F3004C 0D33896C
	v_mfma_f32_16x16x32_fp8_fp8 v[76:79], a[110:111], v[198:199], v[76:79]// 000000004458: D3F3004C 0D338D6E
	s_waitcnt vmcnt(16)                                        // 000000004460: BF8C4F70
	v_mfma_f32_16x16x32_fp8_fp8 v[80:83], a[112:113], v[168:169], v[80:83]// 000000004464: D3F30050 0D435170
	v_mfma_f32_16x16x32_fp8_fp8 v[80:83], a[114:115], v[170:171], v[80:83]// 00000000446C: D3F30050 0D435572
	buffer_load_dwordx4 a[32:35], v38, s[24:27], 0 offen       // 000000004474: E05C1000 80862026
	s_waitcnt lgkmcnt(0)                                       // 00000000447C: BF8CC07F
	v_mov_b32_e32 v22, 0x358637bd                              // 000000004480: 7E2C02FF 358637BD
	v_mov_b32_e32 v23, 0x358637bd                              // 000000004488: 7E2E02FF 358637BD
	v_max3_f32 v22, |v46|, |v48|, v22                          // 000000004490: D1D30316 045A612E
	v_max3_f32 v23, |v47|, |v49|, v23                          // 000000004498: D1D30317 045E632F
	v_max3_f32 v22, |v50|, |v52|, v22                          // 0000000044A0: D1D30316 045A6932
	v_max3_f32 v23, |v51|, |v53|, v23                          // 0000000044A8: D1D30317 045E6B33
	v_max3_f32 v22, |v54|, |v56|, v22                          // 0000000044B0: D1D30316 045A7136
	v_max3_f32 v23, |v55|, |v57|, v23                          // 0000000044B8: D1D30317 045E7337
	v_max3_f32 v22, |v58|, |v60|, v22                          // 0000000044C0: D1D30316 045A793A
	v_max3_f32 v23, |v59|, |v61|, v23                          // 0000000044C8: D1D30317 045E7B3B
	v_mfma_f32_16x16x32_fp8_fp8 v[80:83], a[116:117], v[172:173], v[80:83]// 0000000044D0: D3F30050 0D435974
	ds_read_b64 v[46:47], v4 offset:1024                       // 0000000044D8: D8EC0400 2E000004
	ds_read_b64 v[48:49], v4 offset:1152                       // 0000000044E0: D8EC0480 30000004
	v_mfma_f32_16x16x32_fp8_fp8 v[80:83], a[118:119], v[174:175], v[80:83]// 0000000044E8: D3F30050 0D435D76
	v_mfma_f32_16x16x32_fp8_fp8 v[80:83], a[120:121], v[176:177], v[80:83]// 0000000044F0: D3F30050 0D436178
	ds_read_b64 v[50:51], v4 offset:1280                       // 0000000044F8: D8EC0500 32000004
	ds_read_b64 v[52:53], v4 offset:1408                       // 000000004500: D8EC0580 34000004
	v_mfma_f32_16x16x32_fp8_fp8 v[80:83], a[122:123], v[178:179], v[80:83]// 000000004508: D3F30050 0D43657A
	buffer_load_dwordx4 a[36:39], v38, s[24:27], 0 offen offset:1024// 000000004510: E05C1400 80862426
	v_mfma_f32_16x16x32_fp8_fp8 v[80:83], a[124:125], v[180:181], v[80:83]// 000000004518: D3F30050 0D43697C
	ds_read_b64 v[54:55], v4 offset:1536                       // 000000004520: D8EC0600 36000004
	ds_read_b64 v[56:57], v4 offset:1664                       // 000000004528: D8EC0680 38000004
	v_mfma_f32_16x16x32_fp8_fp8 v[80:83], a[126:127], v[182:183], v[80:83]// 000000004530: D3F30050 0D436D7E
	v_mfma_f32_16x16x32_fp8_fp8 v[84:87], a[112:113], v[184:185], v[84:87]// 000000004538: D3F30054 0D537170
	ds_read_b64 v[58:59], v4 offset:1792                       // 000000004540: D8EC0700 3A000004
	ds_read_b64 v[60:61], v4 offset:1920                       // 000000004548: D8EC0780 3C000004
	v_mfma_f32_16x16x32_fp8_fp8 v[84:87], a[114:115], v[186:187], v[84:87]// 000000004550: D3F30054 0D537572
	buffer_load_dwordx4 a[40:43], v38, s[24:27], 0 offen offset:2048// 000000004558: E05C1800 80862826
	v_mfma_f32_16x16x32_fp8_fp8 v[84:87], a[116:117], v[188:189], v[84:87]// 000000004560: D3F30054 0D537974
	v_mfma_f32_16x16x32_fp8_fp8 v[84:87], a[118:119], v[190:191], v[84:87]// 000000004568: D3F30054 0D537D76
	v_mfma_f32_16x16x32_fp8_fp8 v[84:87], a[120:121], v[192:193], v[84:87]// 000000004570: D3F30054 0D538178
	v_mfma_f32_16x16x32_fp8_fp8 v[84:87], a[122:123], v[194:195], v[84:87]// 000000004578: D3F30054 0D53857A
	buffer_load_dwordx4 a[44:47], v38, s[24:27], 0 offen offset:3072// 000000004580: E05C1C00 80862C26
	s_waitcnt lgkmcnt(0)                                       // 000000004588: BF8CC07F
	v_max3_f32 v22, |v46|, |v48|, v22                          // 00000000458C: D1D30316 045A612E
	v_max3_f32 v23, |v47|, |v49|, v23                          // 000000004594: D1D30317 045E632F
	v_max3_f32 v22, |v50|, |v52|, v22                          // 00000000459C: D1D30316 045A6932
	v_max3_f32 v23, |v51|, |v53|, v23                          // 0000000045A4: D1D30317 045E6B33
	v_max3_f32 v22, |v54|, |v56|, v22                          // 0000000045AC: D1D30316 045A7136
	v_max3_f32 v23, |v55|, |v57|, v23                          // 0000000045B4: D1D30317 045E7337
	v_max3_f32 v22, |v58|, |v60|, v22                          // 0000000045BC: D1D30316 045A793A
	v_max3_f32 v23, |v59|, |v61|, v23                          // 0000000045C4: D1D30317 045E7B3B
	v_mov_b32_e32 v42, 0x43700000                              // 0000000045CC: 7E5402FF 43700000
	v_rcp_f32_e32 v22, v22                                     // 0000000045D4: 7E2C4516
	v_rcp_f32_e32 v23, v23                                     // 0000000045D8: 7E2E4517
	s_nop 1                                                    // 0000000045DC: BF800001
	v_mul_f32_e32 v22, v42, v22                                // 0000000045E0: 0A2C2D2A
	v_mul_f32_e32 v23, v42, v23                                // 0000000045E4: 0A2E2F2A
	v_rcp_f32_e32 v26, v22                                     // 0000000045E8: 7E344516
	v_rcp_f32_e32 v27, v23                                     // 0000000045EC: 7E364517
	v_mov_b32_e32 v42, v22                                     // 0000000045F0: 7E540316
	v_mov_b32_e32 v43, v22                                     // 0000000045F4: 7E560316
	v_mov_b32_e32 v44, v23                                     // 0000000045F8: 7E580317
	v_mov_b32_e32 v45, v23                                     // 0000000045FC: 7E5A0317
	v_pk_mul_f32 v[200:201], v[42:43], v[200:201]              // 000000004600: D3B140C8 1803912A
	v_pk_mul_f32 v[202:203], v[42:43], v[202:203]              // 000000004608: D3B140CA 1803952A
	v_cvt_pk_fp8_f32 v200, v200, v201                          // 000000004610: D2A200C8 000393C8
	v_cvt_pk_fp8_f32 v200, v202, v203 op_sel:[0,0,1]           // 000000004618: D2A240C8 000397CA
	v_pk_mul_f32 v[204:205], v[44:45], v[204:205]              // 000000004620: D3B140CC 1803992C
	v_pk_mul_f32 v[206:207], v[44:45], v[206:207]              // 000000004628: D3B140CE 18039D2C
	v_cvt_pk_fp8_f32 v201, v204, v205                          // 000000004630: D2A200C9 00039BCC
	v_cvt_pk_fp8_f32 v201, v206, v207 op_sel:[0,0,1]           // 000000004638: D2A240C9 00039FCE
	v_pk_mul_f32 v[208:209], v[42:43], v[208:209]              // 000000004640: D3B140D0 1803A12A
	v_pk_mul_f32 v[210:211], v[42:43], v[210:211]              // 000000004648: D3B140D2 1803A52A
	v_cvt_pk_fp8_f32 v202, v208, v209                          // 000000004650: D2A200CA 0003A3D0
	v_cvt_pk_fp8_f32 v202, v210, v211 op_sel:[0,0,1]           // 000000004658: D2A240CA 0003A7D2
	v_pk_mul_f32 v[212:213], v[44:45], v[212:213]              // 000000004660: D3B140D4 1803A92C
	v_pk_mul_f32 v[214:215], v[44:45], v[214:215]              // 000000004668: D3B140D6 1803AD2C
	v_cvt_pk_fp8_f32 v203, v212, v213                          // 000000004670: D2A200CB 0003ABD4
	v_cvt_pk_fp8_f32 v203, v214, v215 op_sel:[0,0,1]           // 000000004678: D2A240CB 0003AFD6
	v_pk_mul_f32 v[216:217], v[42:43], v[216:217]              // 000000004680: D3B140D8 1803B12A
	v_pk_mul_f32 v[218:219], v[42:43], v[218:219]              // 000000004688: D3B140DA 1803B52A
	v_cvt_pk_fp8_f32 v204, v216, v217                          // 000000004690: D2A200CC 0003B3D8
	v_cvt_pk_fp8_f32 v204, v218, v219 op_sel:[0,0,1]           // 000000004698: D2A240CC 0003B7DA
	v_pk_mul_f32 v[220:221], v[44:45], v[220:221]              // 0000000046A0: D3B140DC 1803B92C
	v_pk_mul_f32 v[222:223], v[44:45], v[222:223]              // 0000000046A8: D3B140DE 1803BD2C
	v_cvt_pk_fp8_f32 v205, v220, v221                          // 0000000046B0: D2A200CD 0003BBDC
	v_cvt_pk_fp8_f32 v205, v222, v223 op_sel:[0,0,1]           // 0000000046B8: D2A240CD 0003BFDE
	v_pk_mul_f32 v[224:225], v[42:43], v[224:225]              // 0000000046C0: D3B140E0 1803C12A
	v_pk_mul_f32 v[226:227], v[42:43], v[226:227]              // 0000000046C8: D3B140E2 1803C52A
	v_cvt_pk_fp8_f32 v206, v224, v225                          // 0000000046D0: D2A200CE 0003C3E0
	v_cvt_pk_fp8_f32 v206, v226, v227 op_sel:[0,0,1]           // 0000000046D8: D2A240CE 0003C7E2
	v_pk_mul_f32 v[228:229], v[44:45], v[228:229]              // 0000000046E0: D3B140E4 1803C92C
	v_pk_mul_f32 v[230:231], v[44:45], v[230:231]              // 0000000046E8: D3B140E6 1803CD2C
	v_cvt_pk_fp8_f32 v207, v228, v229                          // 0000000046F0: D2A200CF 0003CBE4
	v_cvt_pk_fp8_f32 v207, v230, v231 op_sel:[0,0,1]           // 0000000046F8: D2A240CF 0003CFE6
	v_mfma_f32_16x16x32_fp8_fp8 v[84:87], a[124:125], v[196:197], v[84:87]// 000000004700: D3F30054 0D53897C
	ds_write_b32 v12, v200 offset:2048                         // 000000004708: D81A0800 0000C80C
	ds_write_b32 v12, v201 offset:6144                         // 000000004710: D81A1800 0000C90C
	v_mfma_f32_16x16x32_fp8_fp8 v[84:87], a[126:127], v[198:199], v[84:87]// 000000004718: D3F30054 0D538D7E
	s_waitcnt vmcnt(16)                                        // 000000004720: BF8C4F70
	v_mfma_f32_16x16x32_fp8_fp8 v[88:91], a[128:129], v[168:169], v[88:91]// 000000004724: D3F30058 0D635180
	ds_write_b32 v12, v202 offset:3072                         // 00000000472C: D81A0C00 0000CA0C
	ds_write_b32 v12, v203 offset:7168                         // 000000004734: D81A1C00 0000CB0C
	v_mfma_f32_16x16x32_fp8_fp8 v[88:91], a[130:131], v[170:171], v[88:91]// 00000000473C: D3F30058 0D635582
	buffer_load_dwordx4 a[48:51], v39, s[24:27], 0 offen       // 000000004744: E05C1000 80863027
	v_mfma_f32_16x16x32_fp8_fp8 v[88:91], a[132:133], v[172:173], v[88:91]// 00000000474C: D3F30058 0D635984
	ds_write_b32 v12, v204 offset:4096                         // 000000004754: D81A1000 0000CC0C
	ds_write_b32 v12, v205 offset:8192                         // 00000000475C: D81A2000 0000CD0C
	v_mfma_f32_16x16x32_fp8_fp8 v[88:91], a[134:135], v[174:175], v[88:91]// 000000004764: D3F30058 0D635D86
	v_mfma_f32_16x16x32_fp8_fp8 v[88:91], a[136:137], v[176:177], v[88:91]// 00000000476C: D3F30058 0D636188
	ds_write_b32 v12, v206 offset:5120                         // 000000004774: D81A1400 0000CE0C
	ds_write_b32 v12, v207 offset:9216                         // 00000000477C: D81A2400 0000CF0C
	v_mfma_f32_16x16x32_fp8_fp8 v[88:91], a[138:139], v[178:179], v[88:91]// 000000004784: D3F30058 0D63658A
	buffer_load_dwordx4 a[52:55], v39, s[24:27], 0 offen offset:1024// 00000000478C: E05C1400 80863427
	v_mfma_f32_16x16x32_fp8_fp8 v[88:91], a[140:141], v[180:181], v[88:91]// 000000004794: D3F30058 0D63698C
	v_mfma_f32_16x16x32_fp8_fp8 v[88:91], a[142:143], v[182:183], v[88:91]// 00000000479C: D3F30058 0D636D8E
	v_mfma_f32_16x16x32_fp8_fp8 v[92:95], a[128:129], v[184:185], v[92:95]// 0000000047A4: D3F3005C 0D737180
	v_mfma_f32_16x16x32_fp8_fp8 v[92:95], a[130:131], v[186:187], v[92:95]// 0000000047AC: D3F3005C 0D737582
	buffer_load_dwordx4 a[56:59], v39, s[24:27], 0 offen offset:2048// 0000000047B4: E05C1800 80863827
	v_mfma_f32_16x16x32_fp8_fp8 v[92:95], a[132:133], v[188:189], v[92:95]// 0000000047BC: D3F3005C 0D737984
	v_mfma_f32_16x16x32_fp8_fp8 v[92:95], a[134:135], v[190:191], v[92:95]// 0000000047C4: D3F3005C 0D737D86
	s_waitcnt lgkmcnt(0)                                       // 0000000047CC: BF8CC07F
	s_barrier                                                  // 0000000047D0: BF8A0000
	v_mfma_f32_16x16x32_fp8_fp8 v[92:95], a[136:137], v[192:193], v[92:95]// 0000000047D4: D3F3005C 0D738188
	ds_read_b64 v[200:201], v13 offset:2048                    // 0000000047DC: D8EC0800 C800000D
	ds_read_b64 v[202:203], v13 offset:2176                    // 0000000047E4: D8EC0880 CA00000D
	v_mfma_f32_16x16x32_fp8_fp8 v[92:95], a[138:139], v[194:195], v[92:95]// 0000000047EC: D3F3005C 0D73858A
	buffer_load_dwordx4 a[60:63], v39, s[24:27], 0 offen offset:3072// 0000000047F4: E05C1C00 80863C27
	v_mfma_f32_16x16x32_fp8_fp8 v[92:95], a[140:141], v[196:197], v[92:95]// 0000000047FC: D3F3005C 0D73898C
	ds_read_b64 v[204:205], v13 offset:3072                    // 000000004804: D8EC0C00 CC00000D
	ds_read_b64 v[206:207], v13 offset:3200                    // 00000000480C: D8EC0C80 CE00000D
	v_mfma_f32_16x16x32_fp8_fp8 v[92:95], a[142:143], v[198:199], v[92:95]// 000000004814: D3F3005C 0D738D8E
	s_waitcnt vmcnt(16)                                        // 00000000481C: BF8C4F70
	v_mfma_f32_16x16x32_fp8_fp8 v[96:99], a[144:145], v[168:169], v[96:99]// 000000004820: D3F30060 0D835190
	ds_read_b64 v[208:209], v13 offset:4096                    // 000000004828: D8EC1000 D000000D
	ds_read_b64 v[210:211], v13 offset:4224                    // 000000004830: D8EC1080 D200000D
	v_mfma_f32_16x16x32_fp8_fp8 v[96:99], a[146:147], v[170:171], v[96:99]// 000000004838: D3F30060 0D835592
	buffer_load_dwordx4 a[64:67], v40, s[24:27], 0 offen       // 000000004840: E05C1000 80864028
	v_mfma_f32_16x16x32_fp8_fp8 v[96:99], a[148:149], v[172:173], v[96:99]// 000000004848: D3F30060 0D835994
	ds_read_b64 v[212:213], v13 offset:5120                    // 000000004850: D8EC1400 D400000D
	ds_read_b64 v[214:215], v13 offset:5248                    // 000000004858: D8EC1480 D600000D
	v_mfma_f32_16x16x32_fp8_fp8 v[96:99], a[150:151], v[174:175], v[96:99]// 000000004860: D3F30060 0D835D96
	v_mfma_f32_16x16x32_fp8_fp8 v[96:99], a[152:153], v[176:177], v[96:99]// 000000004868: D3F30060 0D836198
	ds_read_b64 v[216:217], v13 offset:6144                    // 000000004870: D8EC1800 D800000D
	ds_read_b64 v[218:219], v13 offset:6272                    // 000000004878: D8EC1880 DA00000D
	v_mfma_f32_16x16x32_fp8_fp8 v[96:99], a[154:155], v[178:179], v[96:99]// 000000004880: D3F30060 0D83659A
	buffer_load_dwordx4 a[68:71], v40, s[24:27], 0 offen offset:1024// 000000004888: E05C1400 80864428
	v_mfma_f32_16x16x32_fp8_fp8 v[96:99], a[156:157], v[180:181], v[96:99]// 000000004890: D3F30060 0D83699C
	ds_read_b64 v[220:221], v13 offset:7168                    // 000000004898: D8EC1C00 DC00000D
	ds_read_b64 v[222:223], v13 offset:7296                    // 0000000048A0: D8EC1C80 DE00000D
	v_mfma_f32_16x16x32_fp8_fp8 v[96:99], a[158:159], v[182:183], v[96:99]// 0000000048A8: D3F30060 0D836D9E
	v_mfma_f32_16x16x32_fp8_fp8 v[100:103], a[144:145], v[184:185], v[100:103]// 0000000048B0: D3F30064 0D937190
	ds_read_b64 v[224:225], v13 offset:8192                    // 0000000048B8: D8EC2000 E000000D
	ds_read_b64 v[226:227], v13 offset:8320                    // 0000000048C0: D8EC2080 E200000D
	v_mfma_f32_16x16x32_fp8_fp8 v[100:103], a[146:147], v[186:187], v[100:103]// 0000000048C8: D3F30064 0D937592
	buffer_load_dwordx4 a[72:75], v40, s[24:27], 0 offen offset:2048// 0000000048D0: E05C1800 80864828
	v_mfma_f32_16x16x32_fp8_fp8 v[100:103], a[148:149], v[188:189], v[100:103]// 0000000048D8: D3F30064 0D937994
	ds_read_b64 v[228:229], v13 offset:9216                    // 0000000048E0: D8EC2400 E400000D
	ds_read_b64 v[230:231], v13 offset:9344                    // 0000000048E8: D8EC2480 E600000D
	v_mfma_f32_16x16x32_fp8_fp8 v[100:103], a[150:151], v[190:191], v[100:103]// 0000000048F0: D3F30064 0D937D96
	v_mfma_f32_16x16x32_fp8_fp8 v[100:103], a[152:153], v[192:193], v[100:103]// 0000000048F8: D3F30064 0D938198
	v_mfma_f32_16x16x32_fp8_fp8 v[100:103], a[154:155], v[194:195], v[100:103]// 000000004900: D3F30064 0D93859A
	buffer_load_dwordx4 a[76:79], v40, s[24:27], 0 offen offset:3072// 000000004908: E05C1C00 80864C28
	v_mfma_f32_16x16x32_fp8_fp8 v[100:103], a[156:157], v[196:197], v[100:103]// 000000004910: D3F30064 0D93899C
	v_mfma_f32_16x16x32_fp8_fp8 v[100:103], a[158:159], v[198:199], v[100:103]// 000000004918: D3F30064 0D938D9E
	s_add_u32 s60, 0x200, s80                                  // 000000004920: 803C50FF 00000200
	s_cmp_lt_u32 s60, s81                                      // 000000004928: BF0A513C
	s_cselect_b32 s57, s57, 0                                  // 00000000492C: 85398039
	s_cselect_b32 s91, s91, 0                                  // 000000004930: 855B805B
	s_add_u32 s60, 0x200, s80                                  // 000000004934: 803C50FF 00000200
	s_cmp_lt_u32 s60, s81                                      // 00000000493C: BF0A513C
	s_cselect_b32 s58, s58, 0                                  // 000000004940: 853A803A
	s_add_u32 s20, s57, s20                                    // 000000004944: 80141439
	s_addc_u32 s21, 0, s21                                     // 000000004948: 82151580
	s_add_u32 s28, s91, s28                                    // 00000000494C: 801C1C5B
	s_addc_u32 s29, 0, s29                                     // 000000004950: 821D1D80
	s_add_u32 s24, s58, s24                                    // 000000004954: 8018183A
	s_addc_u32 s25, 0, s25                                     // 000000004958: 82191980
	s_add_u32 s92, s90, s92                                    // 00000000495C: 805C5C5A
	s_addc_u32 s93, 0, s93                                     // 000000004960: 825D5D80
	v_mov_b32_e32 v42, v24                                     // 000000004964: 7E540318
	v_mov_b32_e32 v44, v25                                     // 000000004968: 7E580319
	v_mov_b32_e32 v43, v42                                     // 00000000496C: 7E56032A
	v_mov_b32_e32 v45, v44                                     // 000000004970: 7E5A032C
	v_pk_mul_f32 v[64:65], v[42:43], v[64:65]                  // 000000004974: D3B14040 1802812A
	v_pk_mul_f32 v[66:67], v[42:43], v[66:67]                  // 00000000497C: D3B14042 1802852A
	v_pk_mul_f32 v[68:69], v[44:45], v[68:69]                  // 000000004984: D3B14044 1802892C
	v_pk_mul_f32 v[70:71], v[44:45], v[70:71]                  // 00000000498C: D3B14046 18028D2C
	v_pk_mul_f32 v[72:73], v[42:43], v[72:73]                  // 000000004994: D3B14048 1802912A
	v_pk_mul_f32 v[74:75], v[42:43], v[74:75]                  // 00000000499C: D3B1404A 1802952A
	v_pk_mul_f32 v[76:77], v[44:45], v[76:77]                  // 0000000049A4: D3B1404C 1802992C
	v_pk_mul_f32 v[78:79], v[44:45], v[78:79]                  // 0000000049AC: D3B1404E 18029D2C
	v_pk_mul_f32 v[80:81], v[42:43], v[80:81]                  // 0000000049B4: D3B14050 1802A12A
	v_pk_mul_f32 v[82:83], v[42:43], v[82:83]                  // 0000000049BC: D3B14052 1802A52A
	v_pk_mul_f32 v[84:85], v[44:45], v[84:85]                  // 0000000049C4: D3B14054 1802A92C
	v_pk_mul_f32 v[86:87], v[44:45], v[86:87]                  // 0000000049CC: D3B14056 1802AD2C
	v_pk_mul_f32 v[88:89], v[42:43], v[88:89]                  // 0000000049D4: D3B14058 1802B12A
	v_pk_mul_f32 v[90:91], v[42:43], v[90:91]                  // 0000000049DC: D3B1405A 1802B52A
	v_pk_mul_f32 v[92:93], v[44:45], v[92:93]                  // 0000000049E4: D3B1405C 1802B92C
	v_pk_mul_f32 v[94:95], v[44:45], v[94:95]                  // 0000000049EC: D3B1405E 1802BD2C
	v_pk_mul_f32 v[96:97], v[42:43], v[96:97]                  // 0000000049F4: D3B14060 1802C12A
	v_pk_mul_f32 v[98:99], v[42:43], v[98:99]                  // 0000000049FC: D3B14062 1802C52A
	v_pk_mul_f32 v[100:101], v[44:45], v[100:101]              // 000000004A04: D3B14064 1802C92C
	v_pk_mul_f32 v[102:103], v[44:45], v[102:103]              // 000000004A0C: D3B14066 1802CD2C
	s_addk_i32 s80, 0x100                                      // 000000004A14: B7500100
	s_cmp_lt_i32 s80, s81                                      // 000000004A18: BF045150
	s_cbranch_scc0 label_0BC7                                  // 000000004A1C: BF8403FF
	v_rcp_f32_e32 v42, v26                                     // 000000004A20: 7E54451A
	v_rcp_f32_e32 v44, v27                                     // 000000004A24: 7E58451B
	v_mov_b32_e32 v43, v42                                     // 000000004A28: 7E56032A
	v_mov_b32_e32 v45, v44                                     // 000000004A2C: 7E5A032C
	v_pk_mul_f32 v[128:129], v[42:43], v[128:129]              // 000000004A30: D3B14080 1803012A
	v_pk_mul_f32 v[130:131], v[42:43], v[130:131]              // 000000004A38: D3B14082 1803052A
	v_pk_mul_f32 v[132:133], v[44:45], v[132:133]              // 000000004A40: D3B14084 1803092C
	v_pk_mul_f32 v[134:135], v[44:45], v[134:135]              // 000000004A48: D3B14086 18030D2C
	v_pk_mul_f32 v[136:137], v[42:43], v[136:137]              // 000000004A50: D3B14088 1803112A
	v_pk_mul_f32 v[138:139], v[42:43], v[138:139]              // 000000004A58: D3B1408A 1803152A
	v_pk_mul_f32 v[140:141], v[44:45], v[140:141]              // 000000004A60: D3B1408C 1803192C
	v_pk_mul_f32 v[142:143], v[44:45], v[142:143]              // 000000004A68: D3B1408E 18031D2C
	v_pk_mul_f32 v[144:145], v[42:43], v[144:145]              // 000000004A70: D3B14090 1803212A
	v_pk_mul_f32 v[146:147], v[42:43], v[146:147]              // 000000004A78: D3B14092 1803252A
	v_pk_mul_f32 v[148:149], v[44:45], v[148:149]              // 000000004A80: D3B14094 1803292C
	v_pk_mul_f32 v[150:151], v[44:45], v[150:151]              // 000000004A88: D3B14096 18032D2C
	v_pk_mul_f32 v[152:153], v[42:43], v[152:153]              // 000000004A90: D3B14098 1803312A
	v_pk_mul_f32 v[154:155], v[42:43], v[154:155]              // 000000004A98: D3B1409A 1803352A
	v_pk_mul_f32 v[156:157], v[44:45], v[156:157]              // 000000004AA0: D3B1409C 1803392C
	v_pk_mul_f32 v[158:159], v[44:45], v[158:159]              // 000000004AA8: D3B1409E 18033D2C
	v_pk_mul_f32 v[160:161], v[42:43], v[160:161]              // 000000004AB0: D3B140A0 1803412A
	v_pk_mul_f32 v[162:163], v[42:43], v[162:163]              // 000000004AB8: D3B140A2 1803452A
	v_pk_mul_f32 v[164:165], v[44:45], v[164:165]              // 000000004AC0: D3B140A4 1803492C
	v_pk_mul_f32 v[166:167], v[44:45], v[166:167]              // 000000004AC8: D3B140A6 18034D2C
	s_waitcnt vmcnt(12) lgkmcnt(0)                             // 000000004AD0: BF8C007C
	s_barrier                                                  // 000000004AD4: BF8A0000
	v_mfma_f32_16x16x32_fp8_fp8 v[128:131], a[0:1], v[200:201], v[128:131]// 000000004AD8: D3F30080 0E039100
	v_mfma_f32_16x16x32_fp8_fp8 v[128:131], a[2:3], v[202:203], v[128:131]// 000000004AE0: D3F30080 0E039502
	buffer_load_dwordx4 a[80:83], v36, s[92:95], 0 offen       // 000000004AE8: E05C1000 80975024
	v_mfma_f32_16x16x32_fp8_fp8 v[128:131], a[4:5], v[204:205], v[128:131]// 000000004AF0: D3F30080 0E039904
	v_mfma_f32_16x16x32_fp8_fp8 v[128:131], a[6:7], v[206:207], v[128:131]// 000000004AF8: D3F30080 0E039D06
	buffer_load_dword v28, s[20:23], 0 offen lds               // 000000004B00: E0511000 8005001C
	buffer_load_dword v28, s[20:23], 0 offen offset:256 lds    // 000000004B08: E0511100 8005001C
	s_add_u32 m0, 0x820, s50                                   // 000000004B10: 807C32FF 00000820
	v_mfma_f32_16x16x32_fp8_fp8 v[128:131], a[8:9], v[208:209], v[128:131]// 000000004B18: D3F30080 0E03A108
	v_mfma_f32_16x16x32_fp8_fp8 v[128:131], a[10:11], v[210:211], v[128:131]// 000000004B20: D3F30080 0E03A50A
	buffer_load_dwordx4 a[84:87], v36, s[92:95], 0 offen offset:1024// 000000004B28: E05C1400 80975424
	v_mfma_f32_16x16x32_fp8_fp8 v[128:131], a[12:13], v[212:213], v[128:131]// 000000004B30: D3F30080 0E03A90C
	v_mfma_f32_16x16x32_fp8_fp8 v[128:131], a[14:15], v[214:215], v[128:131]// 000000004B38: D3F30080 0E03AD0E
	buffer_load_dword v29, s[20:23], 0 offen lds               // 000000004B40: E0511000 8005001D
	buffer_load_dword v29, s[20:23], 0 offen offset:256 lds    // 000000004B48: E0511100 8005001D
	s_add_u32 m0, 0x1040, s50                                  // 000000004B50: 807C32FF 00001040
	v_mfma_f32_16x16x32_fp8_fp8 v[132:135], a[0:1], v[216:217], v[132:135]// 000000004B58: D3F30084 0E13B100
	v_mfma_f32_16x16x32_fp8_fp8 v[132:135], a[2:3], v[218:219], v[132:135]// 000000004B60: D3F30084 0E13B502
	buffer_load_dwordx4 a[88:91], v36, s[92:95], 0 offen offset:2048// 000000004B68: E05C1800 80975824
	v_mfma_f32_16x16x32_fp8_fp8 v[132:135], a[4:5], v[220:221], v[132:135]// 000000004B70: D3F30084 0E13B904
	v_mfma_f32_16x16x32_fp8_fp8 v[132:135], a[6:7], v[222:223], v[132:135]// 000000004B78: D3F30084 0E13BD06
	buffer_load_dword v30, s[20:23], 0 offen lds               // 000000004B80: E0511000 8005001E
	buffer_load_dword v30, s[20:23], 0 offen offset:256 lds    // 000000004B88: E0511100 8005001E
	s_add_u32 m0, 0x1860, s50                                  // 000000004B90: 807C32FF 00001860
	v_mfma_f32_16x16x32_fp8_fp8 v[132:135], a[8:9], v[224:225], v[132:135]// 000000004B98: D3F30084 0E13C108
	v_mfma_f32_16x16x32_fp8_fp8 v[132:135], a[10:11], v[226:227], v[132:135]// 000000004BA0: D3F30084 0E13C50A
	buffer_load_dwordx4 a[92:95], v36, s[92:95], 0 offen offset:3072// 000000004BA8: E05C1C00 80975C24
	v_mfma_f32_16x16x32_fp8_fp8 v[132:135], a[12:13], v[228:229], v[132:135]// 000000004BB0: D3F30084 0E13C90C
	v_mfma_f32_16x16x32_fp8_fp8 v[132:135], a[14:15], v[230:231], v[132:135]// 000000004BB8: D3F30084 0E13CD0E
	buffer_load_dword v31, s[20:23], 0 offen lds               // 000000004BC0: E0511000 8005001F
	buffer_load_dword v31, s[20:23], 0 offen offset:256 lds    // 000000004BC8: E0511100 8005001F
	s_add_u32 m0, 0x2080, s50                                  // 000000004BD0: 807C32FF 00002080
	v_mfma_f32_16x16x32_fp8_fp8 v[136:139], a[16:17], v[200:201], v[136:139]// 000000004BD8: D3F30088 0E239110
	v_mfma_f32_16x16x32_fp8_fp8 v[136:139], a[18:19], v[202:203], v[136:139]// 000000004BE0: D3F30088 0E239512
	buffer_load_dwordx4 a[96:99], v37, s[92:95], 0 offen       // 000000004BE8: E05C1000 80976025
	v_mfma_f32_16x16x32_fp8_fp8 v[136:139], a[20:21], v[204:205], v[136:139]// 000000004BF0: D3F30088 0E239914
	v_mfma_f32_16x16x32_fp8_fp8 v[136:139], a[22:23], v[206:207], v[136:139]// 000000004BF8: D3F30088 0E239D16
	buffer_load_dword v32, s[20:23], 0 offen lds               // 000000004C00: E0511000 80050020
	buffer_load_dword v32, s[20:23], 0 offen offset:256 lds    // 000000004C08: E0511100 80050020
	s_add_u32 m0, 0x28a0, s50                                  // 000000004C10: 807C32FF 000028A0
	v_mfma_f32_16x16x32_fp8_fp8 v[136:139], a[24:25], v[208:209], v[136:139]// 000000004C18: D3F30088 0E23A118
	v_mfma_f32_16x16x32_fp8_fp8 v[136:139], a[26:27], v[210:211], v[136:139]// 000000004C20: D3F30088 0E23A51A
	buffer_load_dwordx4 a[100:103], v37, s[92:95], 0 offen offset:1024// 000000004C28: E05C1400 80976425
	v_mfma_f32_16x16x32_fp8_fp8 v[136:139], a[28:29], v[212:213], v[136:139]// 000000004C30: D3F30088 0E23A91C
	v_mfma_f32_16x16x32_fp8_fp8 v[136:139], a[30:31], v[214:215], v[136:139]// 000000004C38: D3F30088 0E23AD1E
	buffer_load_dword v33, s[20:23], 0 offen lds               // 000000004C40: E0511000 80050021
	buffer_load_dword v33, s[20:23], 0 offen offset:256 lds    // 000000004C48: E0511100 80050021
	s_add_u32 m0, 0x30c0, s50                                  // 000000004C50: 807C32FF 000030C0
	v_mfma_f32_16x16x32_fp8_fp8 v[140:143], a[16:17], v[216:217], v[140:143]// 000000004C58: D3F3008C 0E33B110
	v_mfma_f32_16x16x32_fp8_fp8 v[140:143], a[18:19], v[218:219], v[140:143]// 000000004C60: D3F3008C 0E33B512
	buffer_load_dwordx4 a[104:107], v37, s[92:95], 0 offen offset:2048// 000000004C68: E05C1800 80976825
	v_mfma_f32_16x16x32_fp8_fp8 v[140:143], a[20:21], v[220:221], v[140:143]// 000000004C70: D3F3008C 0E33B914
	v_mfma_f32_16x16x32_fp8_fp8 v[140:143], a[22:23], v[222:223], v[140:143]// 000000004C78: D3F3008C 0E33BD16
	buffer_load_dword v34, s[20:23], 0 offen lds               // 000000004C80: E0511000 80050022
	buffer_load_dword v34, s[20:23], 0 offen offset:256 lds    // 000000004C88: E0511100 80050022
	s_add_u32 m0, 0x38e0, s50                                  // 000000004C90: 807C32FF 000038E0
	v_mfma_f32_16x16x32_fp8_fp8 v[140:143], a[24:25], v[224:225], v[140:143]// 000000004C98: D3F3008C 0E33C118
	v_mfma_f32_16x16x32_fp8_fp8 v[140:143], a[26:27], v[226:227], v[140:143]// 000000004CA0: D3F3008C 0E33C51A
	buffer_load_dwordx4 a[108:111], v37, s[92:95], 0 offen offset:3072// 000000004CA8: E05C1C00 80976C25
	v_mfma_f32_16x16x32_fp8_fp8 v[140:143], a[28:29], v[228:229], v[140:143]// 000000004CB0: D3F3008C 0E33C91C
	v_mfma_f32_16x16x32_fp8_fp8 v[140:143], a[30:31], v[230:231], v[140:143]// 000000004CB8: D3F3008C 0E33CD1E
	buffer_load_dword v35, s[20:23], 0 offen lds               // 000000004CC0: E0511000 80050023
	buffer_load_dword v35, s[20:23], 0 offen offset:256 lds    // 000000004CC8: E0511100 80050023
	s_add_u32 m0, 0, s51                                       // 000000004CD0: 807C3380
	buffer_load_dword v14, v6, s[28:31], 0 offen               // 000000004CD4: E0501000 80070E06
	s_waitcnt vmcnt(33)                                        // 000000004CDC: BF8C8F71
	v_mfma_f32_16x16x32_fp8_fp8 v[144:147], a[32:33], v[200:201], v[144:147]// 000000004CE0: D3F30090 0E439120
	v_mfma_f32_16x16x32_fp8_fp8 v[144:147], a[34:35], v[202:203], v[144:147]// 000000004CE8: D3F30090 0E439522
	buffer_load_dwordx4 a[112:115], v38, s[92:95], 0 offen     // 000000004CF0: E05C1000 80977026
	v_mfma_f32_16x16x32_fp8_fp8 v[144:147], a[36:37], v[204:205], v[144:147]// 000000004CF8: D3F30090 0E439924
	v_mfma_f32_16x16x32_fp8_fp8 v[144:147], a[38:39], v[206:207], v[144:147]// 000000004D00: D3F30090 0E439D26
	v_mfma_f32_16x16x32_fp8_fp8 v[144:147], a[40:41], v[208:209], v[144:147]// 000000004D08: D3F30090 0E43A128
	v_mfma_f32_16x16x32_fp8_fp8 v[144:147], a[42:43], v[210:211], v[144:147]// 000000004D10: D3F30090 0E43A52A
	buffer_load_dwordx4 a[116:119], v38, s[92:95], 0 offen offset:1024// 000000004D18: E05C1400 80977426
	v_mfma_f32_16x16x32_fp8_fp8 v[144:147], a[44:45], v[212:213], v[144:147]// 000000004D20: D3F30090 0E43A92C
	v_mfma_f32_16x16x32_fp8_fp8 v[144:147], a[46:47], v[214:215], v[144:147]// 000000004D28: D3F30090 0E43AD2E
	v_mfma_f32_16x16x32_fp8_fp8 v[148:151], a[32:33], v[216:217], v[148:151]// 000000004D30: D3F30094 0E53B120
	v_mfma_f32_16x16x32_fp8_fp8 v[148:151], a[34:35], v[218:219], v[148:151]// 000000004D38: D3F30094 0E53B522
	buffer_load_dwordx4 a[120:123], v38, s[92:95], 0 offen offset:2048// 000000004D40: E05C1800 80977826
	v_mfma_f32_16x16x32_fp8_fp8 v[148:151], a[36:37], v[220:221], v[148:151]// 000000004D48: D3F30094 0E53B924
	v_mfma_f32_16x16x32_fp8_fp8 v[148:151], a[38:39], v[222:223], v[148:151]// 000000004D50: D3F30094 0E53BD26
	v_mfma_f32_16x16x32_fp8_fp8 v[148:151], a[40:41], v[224:225], v[148:151]// 000000004D58: D3F30094 0E53C128
	v_mfma_f32_16x16x32_fp8_fp8 v[148:151], a[42:43], v[226:227], v[148:151]// 000000004D60: D3F30094 0E53C52A
	buffer_load_dwordx4 a[124:127], v38, s[92:95], 0 offen offset:3072// 000000004D68: E05C1C00 80977C26
	v_mfma_f32_16x16x32_fp8_fp8 v[148:151], a[44:45], v[228:229], v[148:151]// 000000004D70: D3F30094 0E53C92C
	v_mfma_f32_16x16x32_fp8_fp8 v[148:151], a[46:47], v[230:231], v[148:151]// 000000004D78: D3F30094 0E53CD2E
	s_waitcnt vmcnt(33)                                        // 000000004D80: BF8C8F71
	v_mfma_f32_16x16x32_fp8_fp8 v[152:155], a[48:49], v[200:201], v[152:155]// 000000004D84: D3F30098 0E639130
	v_mfma_f32_16x16x32_fp8_fp8 v[152:155], a[50:51], v[202:203], v[152:155]// 000000004D8C: D3F30098 0E639532
	buffer_load_dwordx4 a[128:131], v39, s[92:95], 0 offen     // 000000004D94: E05C1000 80978027
	v_mfma_f32_16x16x32_fp8_fp8 v[152:155], a[52:53], v[204:205], v[152:155]// 000000004D9C: D3F30098 0E639934
	v_mfma_f32_16x16x32_fp8_fp8 v[152:155], a[54:55], v[206:207], v[152:155]// 000000004DA4: D3F30098 0E639D36
	v_mfma_f32_16x16x32_fp8_fp8 v[152:155], a[56:57], v[208:209], v[152:155]// 000000004DAC: D3F30098 0E63A138
	v_mfma_f32_16x16x32_fp8_fp8 v[152:155], a[58:59], v[210:211], v[152:155]// 000000004DB4: D3F30098 0E63A53A
	buffer_load_dwordx4 a[132:135], v39, s[92:95], 0 offen offset:1024// 000000004DBC: E05C1400 80978427
	v_mfma_f32_16x16x32_fp8_fp8 v[152:155], a[60:61], v[212:213], v[152:155]// 000000004DC4: D3F30098 0E63A93C
	v_mfma_f32_16x16x32_fp8_fp8 v[152:155], a[62:63], v[214:215], v[152:155]// 000000004DCC: D3F30098 0E63AD3E
	v_mfma_f32_16x16x32_fp8_fp8 v[156:159], a[48:49], v[216:217], v[156:159]// 000000004DD4: D3F3009C 0E73B130
	v_mfma_f32_16x16x32_fp8_fp8 v[156:159], a[50:51], v[218:219], v[156:159]// 000000004DDC: D3F3009C 0E73B532
	buffer_load_dwordx4 a[136:139], v39, s[92:95], 0 offen offset:2048// 000000004DE4: E05C1800 80978827
	v_mfma_f32_16x16x32_fp8_fp8 v[156:159], a[52:53], v[220:221], v[156:159]// 000000004DEC: D3F3009C 0E73B934
	v_mfma_f32_16x16x32_fp8_fp8 v[156:159], a[54:55], v[222:223], v[156:159]// 000000004DF4: D3F3009C 0E73BD36
	v_mfma_f32_16x16x32_fp8_fp8 v[156:159], a[56:57], v[224:225], v[156:159]// 000000004DFC: D3F3009C 0E73C138
	v_mfma_f32_16x16x32_fp8_fp8 v[156:159], a[58:59], v[226:227], v[156:159]// 000000004E04: D3F3009C 0E73C53A
	buffer_load_dwordx4 a[140:143], v39, s[92:95], 0 offen offset:3072// 000000004E0C: E05C1C00 80978C27
	v_mfma_f32_16x16x32_fp8_fp8 v[156:159], a[60:61], v[228:229], v[156:159]// 000000004E14: D3F3009C 0E73C93C
	v_mfma_f32_16x16x32_fp8_fp8 v[156:159], a[62:63], v[230:231], v[156:159]// 000000004E1C: D3F3009C 0E73CD3E
	s_waitcnt vmcnt(33)                                        // 000000004E24: BF8C8F71
	v_mfma_f32_16x16x32_fp8_fp8 v[160:163], a[64:65], v[200:201], v[160:163]// 000000004E28: D3F300A0 0E839140
	v_mfma_f32_16x16x32_fp8_fp8 v[160:163], a[66:67], v[202:203], v[160:163]// 000000004E30: D3F300A0 0E839542
	buffer_load_dwordx4 a[144:147], v40, s[92:95], 0 offen     // 000000004E38: E05C1000 80979028
	v_mfma_f32_16x16x32_fp8_fp8 v[160:163], a[68:69], v[204:205], v[160:163]// 000000004E40: D3F300A0 0E839944
	v_mfma_f32_16x16x32_fp8_fp8 v[160:163], a[70:71], v[206:207], v[160:163]// 000000004E48: D3F300A0 0E839D46
	v_mfma_f32_16x16x32_fp8_fp8 v[160:163], a[72:73], v[208:209], v[160:163]// 000000004E50: D3F300A0 0E83A148
	v_mfma_f32_16x16x32_fp8_fp8 v[160:163], a[74:75], v[210:211], v[160:163]// 000000004E58: D3F300A0 0E83A54A
	buffer_load_dwordx4 a[148:151], v40, s[92:95], 0 offen offset:1024// 000000004E60: E05C1400 80979428
	v_mfma_f32_16x16x32_fp8_fp8 v[160:163], a[76:77], v[212:213], v[160:163]// 000000004E68: D3F300A0 0E83A94C
	v_mfma_f32_16x16x32_fp8_fp8 v[160:163], a[78:79], v[214:215], v[160:163]// 000000004E70: D3F300A0 0E83AD4E
	v_mfma_f32_16x16x32_fp8_fp8 v[164:167], a[64:65], v[216:217], v[164:167]// 000000004E78: D3F300A4 0E93B140
	v_mfma_f32_16x16x32_fp8_fp8 v[164:167], a[66:67], v[218:219], v[164:167]// 000000004E80: D3F300A4 0E93B542
	buffer_load_dwordx4 a[152:155], v40, s[92:95], 0 offen offset:2048// 000000004E88: E05C1800 80979828
	v_mfma_f32_16x16x32_fp8_fp8 v[164:167], a[68:69], v[220:221], v[164:167]// 000000004E90: D3F300A4 0E93B944
	v_mfma_f32_16x16x32_fp8_fp8 v[164:167], a[70:71], v[222:223], v[164:167]// 000000004E98: D3F300A4 0E93BD46
	v_mfma_f32_16x16x32_fp8_fp8 v[164:167], a[72:73], v[224:225], v[164:167]// 000000004EA0: D3F300A4 0E93C148
	v_mfma_f32_16x16x32_fp8_fp8 v[164:167], a[74:75], v[226:227], v[164:167]// 000000004EA8: D3F300A4 0E93C54A
	buffer_load_dwordx4 a[156:159], v40, s[92:95], 0 offen offset:3072// 000000004EB0: E05C1C00 80979C28
	v_mfma_f32_16x16x32_fp8_fp8 v[164:167], a[76:77], v[228:229], v[164:167]// 000000004EB8: D3F300A4 0E93C94C
	v_mfma_f32_16x16x32_fp8_fp8 v[164:167], a[78:79], v[230:231], v[164:167]// 000000004EC0: D3F300A4 0E93CD4E
	v_mov_b32_e32 v42, v26                                     // 000000004EC8: 7E54031A
	v_mov_b32_e32 v44, v27                                     // 000000004ECC: 7E58031B
	v_mov_b32_e32 v43, v42                                     // 000000004ED0: 7E56032A
	v_mov_b32_e32 v45, v44                                     // 000000004ED4: 7E5A032C
	v_pk_mul_f32 v[128:129], v[42:43], v[128:129]              // 000000004ED8: D3B14080 1803012A
	v_pk_mul_f32 v[130:131], v[42:43], v[130:131]              // 000000004EE0: D3B14082 1803052A
	v_pk_mul_f32 v[132:133], v[44:45], v[132:133]              // 000000004EE8: D3B14084 1803092C
	v_pk_mul_f32 v[134:135], v[44:45], v[134:135]              // 000000004EF0: D3B14086 18030D2C
	v_pk_mul_f32 v[136:137], v[42:43], v[136:137]              // 000000004EF8: D3B14088 1803112A
	v_pk_mul_f32 v[138:139], v[42:43], v[138:139]              // 000000004F00: D3B1408A 1803152A
	v_pk_mul_f32 v[140:141], v[44:45], v[140:141]              // 000000004F08: D3B1408C 1803192C
	v_pk_mul_f32 v[142:143], v[44:45], v[142:143]              // 000000004F10: D3B1408E 18031D2C
	v_pk_mul_f32 v[144:145], v[42:43], v[144:145]              // 000000004F18: D3B14090 1803212A
	v_pk_mul_f32 v[146:147], v[42:43], v[146:147]              // 000000004F20: D3B14092 1803252A
	v_pk_mul_f32 v[148:149], v[44:45], v[148:149]              // 000000004F28: D3B14094 1803292C
	v_pk_mul_f32 v[150:151], v[44:45], v[150:151]              // 000000004F30: D3B14096 18032D2C
	v_pk_mul_f32 v[152:153], v[42:43], v[152:153]              // 000000004F38: D3B14098 1803312A
	v_pk_mul_f32 v[154:155], v[42:43], v[154:155]              // 000000004F40: D3B1409A 1803352A
	v_pk_mul_f32 v[156:157], v[44:45], v[156:157]              // 000000004F48: D3B1409C 1803392C
	v_pk_mul_f32 v[158:159], v[44:45], v[158:159]              // 000000004F50: D3B1409E 18033D2C
	v_pk_mul_f32 v[160:161], v[42:43], v[160:161]              // 000000004F58: D3B140A0 1803412A
	v_pk_mul_f32 v[162:163], v[42:43], v[162:163]              // 000000004F60: D3B140A2 1803452A
	v_pk_mul_f32 v[164:165], v[44:45], v[164:165]              // 000000004F68: D3B140A4 1803492C
	v_pk_mul_f32 v[166:167], v[44:45], v[166:167]              // 000000004F70: D3B140A6 18034D2C
	v_rcp_f32_e32 v42, v26                                     // 000000004F78: 7E54451A
	v_rcp_f32_e32 v44, v27                                     // 000000004F7C: 7E58451B
	v_mov_b32_e32 v43, v42                                     // 000000004F80: 7E56032A
	v_mov_b32_e32 v45, v44                                     // 000000004F84: 7E5A032C
	v_pk_mul_f32 v[64:65], v[42:43], v[64:65]                  // 000000004F88: D3B14040 1802812A
	v_pk_mul_f32 v[66:67], v[42:43], v[66:67]                  // 000000004F90: D3B14042 1802852A
	v_pk_mul_f32 v[68:69], v[44:45], v[68:69]                  // 000000004F98: D3B14044 1802892C
	v_pk_mul_f32 v[70:71], v[44:45], v[70:71]                  // 000000004FA0: D3B14046 18028D2C
	v_pk_mul_f32 v[72:73], v[42:43], v[72:73]                  // 000000004FA8: D3B14048 1802912A
	v_pk_mul_f32 v[74:75], v[42:43], v[74:75]                  // 000000004FB0: D3B1404A 1802952A
	v_pk_mul_f32 v[76:77], v[44:45], v[76:77]                  // 000000004FB8: D3B1404C 1802992C
	v_pk_mul_f32 v[78:79], v[44:45], v[78:79]                  // 000000004FC0: D3B1404E 18029D2C
	v_pk_mul_f32 v[80:81], v[42:43], v[80:81]                  // 000000004FC8: D3B14050 1802A12A
	v_pk_mul_f32 v[82:83], v[42:43], v[82:83]                  // 000000004FD0: D3B14052 1802A52A
	v_pk_mul_f32 v[84:85], v[44:45], v[84:85]                  // 000000004FD8: D3B14054 1802A92C
	v_pk_mul_f32 v[86:87], v[44:45], v[86:87]                  // 000000004FE0: D3B14056 1802AD2C
	v_pk_mul_f32 v[88:89], v[42:43], v[88:89]                  // 000000004FE8: D3B14058 1802B12A
	v_pk_mul_f32 v[90:91], v[42:43], v[90:91]                  // 000000004FF0: D3B1405A 1802B52A
	v_pk_mul_f32 v[92:93], v[44:45], v[92:93]                  // 000000004FF8: D3B1405C 1802B92C
	v_pk_mul_f32 v[94:95], v[44:45], v[94:95]                  // 000000005000: D3B1405E 1802BD2C
	v_pk_mul_f32 v[96:97], v[42:43], v[96:97]                  // 000000005008: D3B14060 1802C12A
	v_pk_mul_f32 v[98:99], v[42:43], v[98:99]                  // 000000005010: D3B14062 1802C52A
	v_pk_mul_f32 v[100:101], v[44:45], v[100:101]              // 000000005018: D3B14064 1802C92C
	v_pk_mul_f32 v[102:103], v[44:45], v[102:103]              // 000000005020: D3B14066 1802CD2C
	s_waitcnt vmcnt(12)                                        // 000000005028: BF8C0F7C
	s_barrier                                                  // 00000000502C: BF8A0000
	v_mfma_f32_16x16x32_fp8_fp8 v[64:67], a[80:81], v[200:201], v[64:67]// 000000005030: D3F30040 0D039150
	ds_read_b64 v[168:169], v2 offset:2048                     // 000000005038: D8EC0800 A8000002
	ds_read_b64 v[172:173], v2 offset:10368                    // 000000005040: D8EC2880 AC000002
	v_mfma_f32_16x16x32_fp8_fp8 v[64:67], a[82:83], v[202:203], v[64:67]// 000000005048: D3F30040 0D039552
	buffer_load_dwordx4 a[0:3], v36, s[24:27], 0 offen         // 000000005050: E05C1000 80860024
	v_mfma_f32_16x16x32_fp8_fp8 v[64:67], a[84:85], v[204:205], v[64:67]// 000000005058: D3F30040 0D039954
	ds_read_b64 v[176:177], v2 offset:2176                     // 000000005060: D8EC0880 B0000002
	ds_read_b64 v[180:181], v2 offset:10496                    // 000000005068: D8EC2900 B4000002
	v_mfma_f32_16x16x32_fp8_fp8 v[64:67], a[86:87], v[206:207], v[64:67]// 000000005070: D3F30040 0D039D56
	v_mfma_f32_16x16x32_fp8_fp8 v[64:67], a[88:89], v[208:209], v[64:67]// 000000005078: D3F30040 0D03A158
	ds_read_b64 v[184:185], v2 offset:2304                     // 000000005080: D8EC0900 B8000002
	ds_read_b64 v[188:189], v2 offset:10624                    // 000000005088: D8EC2980 BC000002
	v_mfma_f32_16x16x32_fp8_fp8 v[64:67], a[90:91], v[210:211], v[64:67]// 000000005090: D3F30040 0D03A55A
	buffer_load_dwordx4 a[4:7], v36, s[24:27], 0 offen offset:1024// 000000005098: E05C1400 80860424
	v_mfma_f32_16x16x32_fp8_fp8 v[64:67], a[92:93], v[212:213], v[64:67]// 0000000050A0: D3F30040 0D03A95C
	ds_read_b64 v[192:193], v2 offset:2432                     // 0000000050A8: D8EC0980 C0000002
	ds_read_b64 v[196:197], v2 offset:10752                    // 0000000050B0: D8EC2A00 C4000002
	v_mfma_f32_16x16x32_fp8_fp8 v[64:67], a[94:95], v[214:215], v[64:67]// 0000000050B8: D3F30040 0D03AD5E
	s_waitcnt lgkmcnt(4)                                       // 0000000050C0: BF8CC47F
	v_and_b32_e32 v171, 0xffff0000, v169                       // 0000000050C4: 275752FF FFFF0000
	v_lshlrev_b32_e32 v170, 16, v169                           // 0000000050CC: 25555290
	v_and_b32_e32 v169, 0xffff0000, v168                       // 0000000050D0: 275350FF FFFF0000
	v_lshlrev_b32_e32 v168, 16, v168                           // 0000000050D8: 25515090
	v_and_b32_e32 v175, 0xffff0000, v173                       // 0000000050DC: 275F5AFF FFFF0000
	v_lshlrev_b32_e32 v174, 16, v173                           // 0000000050E4: 255D5A90
	v_and_b32_e32 v173, 0xffff0000, v172                       // 0000000050E8: 275B58FF FFFF0000
	v_lshlrev_b32_e32 v172, 16, v172                           // 0000000050F0: 25595890
	v_and_b32_e32 v179, 0xffff0000, v177                       // 0000000050F4: 276762FF FFFF0000
	v_lshlrev_b32_e32 v178, 16, v177                           // 0000000050FC: 25656290
	v_and_b32_e32 v177, 0xffff0000, v176                       // 000000005100: 276360FF FFFF0000
	v_lshlrev_b32_e32 v176, 16, v176                           // 000000005108: 25616090
	v_and_b32_e32 v183, 0xffff0000, v181                       // 00000000510C: 276F6AFF FFFF0000
	v_lshlrev_b32_e32 v182, 16, v181                           // 000000005114: 256D6A90
	v_and_b32_e32 v181, 0xffff0000, v180                       // 000000005118: 276B68FF FFFF0000
	v_lshlrev_b32_e32 v180, 16, v180                           // 000000005120: 25696890
	v_mul_f32_dpp v168, v14, v168 row_newbcast:0 row_mask:0xf bank_mask:0xf// 000000005124: 0B5150FA FF01500E
	v_mul_f32_dpp v169, v14, v169 row_newbcast:1 row_mask:0xf bank_mask:0xf// 00000000512C: 0B5352FA FF01510E
	v_mul_f32_dpp v170, v14, v170 row_newbcast:2 row_mask:0xf bank_mask:0xf// 000000005134: 0B5554FA FF01520E
	v_mul_f32_dpp v171, v14, v171 row_newbcast:3 row_mask:0xf bank_mask:0xf// 00000000513C: 0B5756FA FF01530E
	v_mul_f32_dpp v172, v14, v172 row_newbcast:0 row_mask:0xf bank_mask:0xf// 000000005144: 0B5958FA FF01500E
	v_mul_f32_dpp v173, v14, v173 row_newbcast:1 row_mask:0xf bank_mask:0xf// 00000000514C: 0B5B5AFA FF01510E
	v_mul_f32_dpp v174, v14, v174 row_newbcast:2 row_mask:0xf bank_mask:0xf// 000000005154: 0B5D5CFA FF01520E
	v_mul_f32_dpp v175, v14, v175 row_newbcast:3 row_mask:0xf bank_mask:0xf// 00000000515C: 0B5F5EFA FF01530E
	v_mul_f32_dpp v176, v14, v176 row_newbcast:4 row_mask:0xf bank_mask:0xf// 000000005164: 0B6160FA FF01540E
	v_mul_f32_dpp v177, v14, v177 row_newbcast:5 row_mask:0xf bank_mask:0xf// 00000000516C: 0B6362FA FF01550E
	v_mul_f32_dpp v178, v14, v178 row_newbcast:6 row_mask:0xf bank_mask:0xf// 000000005174: 0B6564FA FF01560E
	v_mul_f32_dpp v179, v14, v179 row_newbcast:7 row_mask:0xf bank_mask:0xf// 00000000517C: 0B6766FA FF01570E
	v_mul_f32_dpp v180, v14, v180 row_newbcast:4 row_mask:0xf bank_mask:0xf// 000000005184: 0B6968FA FF01540E
	v_mul_f32_dpp v181, v14, v181 row_newbcast:5 row_mask:0xf bank_mask:0xf// 00000000518C: 0B6B6AFA FF01550E
	v_mul_f32_dpp v182, v14, v182 row_newbcast:6 row_mask:0xf bank_mask:0xf// 000000005194: 0B6D6CFA FF01560E
	v_mul_f32_dpp v183, v14, v183 row_newbcast:7 row_mask:0xf bank_mask:0xf// 00000000519C: 0B6F6EFA FF01570E
	v_mfma_f32_16x16x32_fp8_fp8 v[68:71], a[80:81], v[216:217], v[68:71]// 0000000051A4: D3F30044 0D13B150
	v_mfma_f32_16x16x32_fp8_fp8 v[68:71], a[82:83], v[218:219], v[68:71]// 0000000051AC: D3F30044 0D13B552
	buffer_load_dwordx4 a[8:11], v36, s[24:27], 0 offen offset:2048// 0000000051B4: E05C1800 80860824
	v_mfma_f32_16x16x32_fp8_fp8 v[68:71], a[84:85], v[220:221], v[68:71]// 0000000051BC: D3F30044 0D13B954
	v_mfma_f32_16x16x32_fp8_fp8 v[68:71], a[86:87], v[222:223], v[68:71]// 0000000051C4: D3F30044 0D13BD56
	v_mfma_f32_16x16x32_fp8_fp8 v[68:71], a[88:89], v[224:225], v[68:71]// 0000000051CC: D3F30044 0D13C158
	v_mfma_f32_16x16x32_fp8_fp8 v[68:71], a[90:91], v[226:227], v[68:71]// 0000000051D4: D3F30044 0D13C55A
	buffer_load_dwordx4 a[12:15], v36, s[24:27], 0 offen offset:3072// 0000000051DC: E05C1C00 80860C24
	v_mfma_f32_16x16x32_fp8_fp8 v[68:71], a[92:93], v[228:229], v[68:71]// 0000000051E4: D3F30044 0D13C95C
	v_mfma_f32_16x16x32_fp8_fp8 v[68:71], a[94:95], v[230:231], v[68:71]// 0000000051EC: D3F30044 0D13CD5E
	s_waitcnt lgkmcnt(0)                                       // 0000000051F4: BF8CC07F
	v_and_b32_e32 v187, 0xffff0000, v185                       // 0000000051F8: 277772FF FFFF0000
	v_lshlrev_b32_e32 v186, 16, v185                           // 000000005200: 25757290
	v_and_b32_e32 v185, 0xffff0000, v184                       // 000000005204: 277370FF FFFF0000
	v_lshlrev_b32_e32 v184, 16, v184                           // 00000000520C: 25717090
	v_and_b32_e32 v191, 0xffff0000, v189                       // 000000005210: 277F7AFF FFFF0000
	v_lshlrev_b32_e32 v190, 16, v189                           // 000000005218: 257D7A90
	v_and_b32_e32 v189, 0xffff0000, v188                       // 00000000521C: 277B78FF FFFF0000
	v_lshlrev_b32_e32 v188, 16, v188                           // 000000005224: 25797890
	v_and_b32_e32 v195, 0xffff0000, v193                       // 000000005228: 278782FF FFFF0000
	v_lshlrev_b32_e32 v194, 16, v193                           // 000000005230: 25858290
	v_and_b32_e32 v193, 0xffff0000, v192                       // 000000005234: 278380FF FFFF0000
	v_lshlrev_b32_e32 v192, 16, v192                           // 00000000523C: 25818090
	v_and_b32_e32 v199, 0xffff0000, v197                       // 000000005240: 278F8AFF FFFF0000
	v_lshlrev_b32_e32 v198, 16, v197                           // 000000005248: 258D8A90
	v_and_b32_e32 v197, 0xffff0000, v196                       // 00000000524C: 278B88FF FFFF0000
	v_lshlrev_b32_e32 v196, 16, v196                           // 000000005254: 25898890
	v_mul_f32_dpp v184, v14, v184 row_newbcast:8 row_mask:0xf bank_mask:0xf// 000000005258: 0B7170FA FF01580E
	v_mul_f32_dpp v185, v14, v185 row_newbcast:9 row_mask:0xf bank_mask:0xf// 000000005260: 0B7372FA FF01590E
	v_mul_f32_dpp v186, v14, v186 row_newbcast:10 row_mask:0xf bank_mask:0xf// 000000005268: 0B7574FA FF015A0E
	v_mul_f32_dpp v187, v14, v187 row_newbcast:11 row_mask:0xf bank_mask:0xf// 000000005270: 0B7776FA FF015B0E
	v_mul_f32_dpp v188, v14, v188 row_newbcast:8 row_mask:0xf bank_mask:0xf// 000000005278: 0B7978FA FF01580E
	v_mul_f32_dpp v189, v14, v189 row_newbcast:9 row_mask:0xf bank_mask:0xf// 000000005280: 0B7B7AFA FF01590E
	v_mul_f32_dpp v190, v14, v190 row_newbcast:10 row_mask:0xf bank_mask:0xf// 000000005288: 0B7D7CFA FF015A0E
	v_mul_f32_dpp v191, v14, v191 row_newbcast:11 row_mask:0xf bank_mask:0xf// 000000005290: 0B7F7EFA FF015B0E
	v_mul_f32_dpp v192, v14, v192 row_newbcast:12 row_mask:0xf bank_mask:0xf// 000000005298: 0B8180FA FF015C0E
	v_mul_f32_dpp v193, v14, v193 row_newbcast:13 row_mask:0xf bank_mask:0xf// 0000000052A0: 0B8382FA FF015D0E
	v_mul_f32_dpp v194, v14, v194 row_newbcast:14 row_mask:0xf bank_mask:0xf// 0000000052A8: 0B8584FA FF015E0E
	v_mul_f32_dpp v195, v14, v195 row_newbcast:15 row_mask:0xf bank_mask:0xf// 0000000052B0: 0B8786FA FF015F0E
	v_mul_f32_dpp v196, v14, v196 row_newbcast:12 row_mask:0xf bank_mask:0xf// 0000000052B8: 0B8988FA FF015C0E
	v_mul_f32_dpp v197, v14, v197 row_newbcast:13 row_mask:0xf bank_mask:0xf// 0000000052C0: 0B8B8AFA FF015D0E
	v_mul_f32_dpp v198, v14, v198 row_newbcast:14 row_mask:0xf bank_mask:0xf// 0000000052C8: 0B8D8CFA FF015E0E
	v_mul_f32_dpp v199, v14, v199 row_newbcast:15 row_mask:0xf bank_mask:0xf// 0000000052D0: 0B8F8EFA FF015F0E
	v_mfma_f32_16x16x32_fp8_fp8 v[72:75], a[96:97], v[200:201], v[72:75]// 0000000052D8: D3F30048 0D239160
	v_mfma_f32_16x16x32_fp8_fp8 v[72:75], a[98:99], v[202:203], v[72:75]// 0000000052E0: D3F30048 0D239562
	buffer_load_dwordx4 a[16:19], v37, s[24:27], 0 offen       // 0000000052E8: E05C1000 80861025
	v_mov_b32_e32 v46, 0x358637bd                              // 0000000052F0: 7E5C02FF 358637BD
	v_mov_b32_e32 v47, 0x358637bd                              // 0000000052F8: 7E5E02FF 358637BD
	v_max3_f32 v46, |v168|, |v169|, v46                        // 000000005300: D1D3032E 04BB53A8
	v_max3_f32 v46, |v170|, |v171|, v46                        // 000000005308: D1D3032E 04BB57AA
	v_max3_f32 v47, |v172|, |v173|, v47                        // 000000005310: D1D3032F 04BF5BAC
	v_max3_f32 v47, |v174|, |v175|, v47                        // 000000005318: D1D3032F 04BF5FAE
	v_max3_f32 v46, |v176|, |v177|, v46                        // 000000005320: D1D3032E 04BB63B0
	v_max3_f32 v46, |v178|, |v179|, v46                        // 000000005328: D1D3032E 04BB67B2
	v_max3_f32 v47, |v180|, |v181|, v47                        // 000000005330: D1D3032F 04BF6BB4
	v_max3_f32 v47, |v182|, |v183|, v47                        // 000000005338: D1D3032F 04BF6FB6
	v_max3_f32 v46, |v184|, |v185|, v46                        // 000000005340: D1D3032E 04BB73B8
	v_max3_f32 v46, |v186|, |v187|, v46                        // 000000005348: D1D3032E 04BB77BA
	v_max3_f32 v47, |v188|, |v189|, v47                        // 000000005350: D1D3032F 04BF7BBC
	v_max3_f32 v47, |v190|, |v191|, v47                        // 000000005358: D1D3032F 04BF7FBE
	v_max3_f32 v46, |v192|, |v193|, v46                        // 000000005360: D1D3032E 04BB83C0
	v_max3_f32 v46, |v194|, |v195|, v46                        // 000000005368: D1D3032E 04BB87C2
	v_max3_f32 v47, |v196|, |v197|, v47                        // 000000005370: D1D3032F 04BF8BC4
	v_max3_f32 v47, |v198|, |v199|, v47                        // 000000005378: D1D3032F 04BF8FC6
	v_mfma_f32_16x16x32_fp8_fp8 v[72:75], a[100:101], v[204:205], v[72:75]// 000000005380: D3F30048 0D239964
	ds_write_b64 v3, v[46:47]                                  // 000000005388: D89A0000 00002E03
	v_mfma_f32_16x16x32_fp8_fp8 v[72:75], a[102:103], v[206:207], v[72:75]// 000000005390: D3F30048 0D239D66
	v_mfma_f32_16x16x32_fp8_fp8 v[72:75], a[104:105], v[208:209], v[72:75]// 000000005398: D3F30048 0D23A168
	v_mfma_f32_16x16x32_fp8_fp8 v[72:75], a[106:107], v[210:211], v[72:75]// 0000000053A0: D3F30048 0D23A56A
	buffer_load_dwordx4 a[20:23], v37, s[24:27], 0 offen offset:1024// 0000000053A8: E05C1400 80861425
	s_waitcnt lgkmcnt(0)                                       // 0000000053B0: BF8CC07F
	s_barrier                                                  // 0000000053B4: BF8A0000
	v_mfma_f32_16x16x32_fp8_fp8 v[72:75], a[108:109], v[212:213], v[72:75]// 0000000053B8: D3F30048 0D23A96C
	ds_read_b64 v[46:47], v4                                   // 0000000053C0: D8EC0000 2E000004
	ds_read_b64 v[48:49], v4 offset:128                        // 0000000053C8: D8EC0080 30000004
	v_mfma_f32_16x16x32_fp8_fp8 v[72:75], a[110:111], v[214:215], v[72:75]// 0000000053D0: D3F30048 0D23AD6E
	v_mfma_f32_16x16x32_fp8_fp8 v[76:79], a[96:97], v[216:217], v[76:79]// 0000000053D8: D3F3004C 0D33B160
	ds_read_b64 v[50:51], v4 offset:256                        // 0000000053E0: D8EC0100 32000004
	ds_read_b64 v[52:53], v4 offset:384                        // 0000000053E8: D8EC0180 34000004
	v_mfma_f32_16x16x32_fp8_fp8 v[76:79], a[98:99], v[218:219], v[76:79]// 0000000053F0: D3F3004C 0D33B562
	buffer_load_dwordx4 a[24:27], v37, s[24:27], 0 offen offset:2048// 0000000053F8: E05C1800 80861825
	v_mfma_f32_16x16x32_fp8_fp8 v[76:79], a[100:101], v[220:221], v[76:79]// 000000005400: D3F3004C 0D33B964
	ds_read_b64 v[54:55], v4 offset:512                        // 000000005408: D8EC0200 36000004
	ds_read_b64 v[56:57], v4 offset:640                        // 000000005410: D8EC0280 38000004
	v_mfma_f32_16x16x32_fp8_fp8 v[76:79], a[102:103], v[222:223], v[76:79]// 000000005418: D3F3004C 0D33BD66
	v_mfma_f32_16x16x32_fp8_fp8 v[76:79], a[104:105], v[224:225], v[76:79]// 000000005420: D3F3004C 0D33C168
	ds_read_b64 v[58:59], v4 offset:768                        // 000000005428: D8EC0300 3A000004
	ds_read_b64 v[60:61], v4 offset:896                        // 000000005430: D8EC0380 3C000004
	v_mfma_f32_16x16x32_fp8_fp8 v[76:79], a[106:107], v[226:227], v[76:79]// 000000005438: D3F3004C 0D33C56A
	buffer_load_dwordx4 a[28:31], v37, s[24:27], 0 offen offset:3072// 000000005440: E05C1C00 80861C25
	v_mfma_f32_16x16x32_fp8_fp8 v[76:79], a[108:109], v[228:229], v[76:79]// 000000005448: D3F3004C 0D33C96C
	v_mfma_f32_16x16x32_fp8_fp8 v[76:79], a[110:111], v[230:231], v[76:79]// 000000005450: D3F3004C 0D33CD6E
	s_waitcnt vmcnt(16)                                        // 000000005458: BF8C4F70
	v_mfma_f32_16x16x32_fp8_fp8 v[80:83], a[112:113], v[200:201], v[80:83]// 00000000545C: D3F30050 0D439170
	v_mfma_f32_16x16x32_fp8_fp8 v[80:83], a[114:115], v[202:203], v[80:83]// 000000005464: D3F30050 0D439572
	buffer_load_dwordx4 a[32:35], v38, s[24:27], 0 offen       // 00000000546C: E05C1000 80862026
	s_waitcnt lgkmcnt(0)                                       // 000000005474: BF8CC07F
	v_mov_b32_e32 v22, 0x358637bd                              // 000000005478: 7E2C02FF 358637BD
	v_mov_b32_e32 v23, 0x358637bd                              // 000000005480: 7E2E02FF 358637BD
	v_max3_f32 v22, |v46|, |v48|, v22                          // 000000005488: D1D30316 045A612E
	v_max3_f32 v23, |v47|, |v49|, v23                          // 000000005490: D1D30317 045E632F
	v_max3_f32 v22, |v50|, |v52|, v22                          // 000000005498: D1D30316 045A6932
	v_max3_f32 v23, |v51|, |v53|, v23                          // 0000000054A0: D1D30317 045E6B33
	v_max3_f32 v22, |v54|, |v56|, v22                          // 0000000054A8: D1D30316 045A7136
	v_max3_f32 v23, |v55|, |v57|, v23                          // 0000000054B0: D1D30317 045E7337
	v_max3_f32 v22, |v58|, |v60|, v22                          // 0000000054B8: D1D30316 045A793A
	v_max3_f32 v23, |v59|, |v61|, v23                          // 0000000054C0: D1D30317 045E7B3B
	v_mfma_f32_16x16x32_fp8_fp8 v[80:83], a[116:117], v[204:205], v[80:83]// 0000000054C8: D3F30050 0D439974
	ds_read_b64 v[46:47], v4 offset:1024                       // 0000000054D0: D8EC0400 2E000004
	ds_read_b64 v[48:49], v4 offset:1152                       // 0000000054D8: D8EC0480 30000004
	v_mfma_f32_16x16x32_fp8_fp8 v[80:83], a[118:119], v[206:207], v[80:83]// 0000000054E0: D3F30050 0D439D76
	v_mfma_f32_16x16x32_fp8_fp8 v[80:83], a[120:121], v[208:209], v[80:83]// 0000000054E8: D3F30050 0D43A178
	ds_read_b64 v[50:51], v4 offset:1280                       // 0000000054F0: D8EC0500 32000004
	ds_read_b64 v[52:53], v4 offset:1408                       // 0000000054F8: D8EC0580 34000004
	v_mfma_f32_16x16x32_fp8_fp8 v[80:83], a[122:123], v[210:211], v[80:83]// 000000005500: D3F30050 0D43A57A
	buffer_load_dwordx4 a[36:39], v38, s[24:27], 0 offen offset:1024// 000000005508: E05C1400 80862426
	v_mfma_f32_16x16x32_fp8_fp8 v[80:83], a[124:125], v[212:213], v[80:83]// 000000005510: D3F30050 0D43A97C
	ds_read_b64 v[54:55], v4 offset:1536                       // 000000005518: D8EC0600 36000004
	ds_read_b64 v[56:57], v4 offset:1664                       // 000000005520: D8EC0680 38000004
	v_mfma_f32_16x16x32_fp8_fp8 v[80:83], a[126:127], v[214:215], v[80:83]// 000000005528: D3F30050 0D43AD7E
	v_mfma_f32_16x16x32_fp8_fp8 v[84:87], a[112:113], v[216:217], v[84:87]// 000000005530: D3F30054 0D53B170
	ds_read_b64 v[58:59], v4 offset:1792                       // 000000005538: D8EC0700 3A000004
	ds_read_b64 v[60:61], v4 offset:1920                       // 000000005540: D8EC0780 3C000004
	v_mfma_f32_16x16x32_fp8_fp8 v[84:87], a[114:115], v[218:219], v[84:87]// 000000005548: D3F30054 0D53B572
	buffer_load_dwordx4 a[40:43], v38, s[24:27], 0 offen offset:2048// 000000005550: E05C1800 80862826
	v_mfma_f32_16x16x32_fp8_fp8 v[84:87], a[116:117], v[220:221], v[84:87]// 000000005558: D3F30054 0D53B974
	v_mfma_f32_16x16x32_fp8_fp8 v[84:87], a[118:119], v[222:223], v[84:87]// 000000005560: D3F30054 0D53BD76
	v_mfma_f32_16x16x32_fp8_fp8 v[84:87], a[120:121], v[224:225], v[84:87]// 000000005568: D3F30054 0D53C178
	v_mfma_f32_16x16x32_fp8_fp8 v[84:87], a[122:123], v[226:227], v[84:87]// 000000005570: D3F30054 0D53C57A
	buffer_load_dwordx4 a[44:47], v38, s[24:27], 0 offen offset:3072// 000000005578: E05C1C00 80862C26
	s_waitcnt lgkmcnt(0)                                       // 000000005580: BF8CC07F
	v_max3_f32 v22, |v46|, |v48|, v22                          // 000000005584: D1D30316 045A612E
	v_max3_f32 v23, |v47|, |v49|, v23                          // 00000000558C: D1D30317 045E632F
	v_max3_f32 v22, |v50|, |v52|, v22                          // 000000005594: D1D30316 045A6932
	v_max3_f32 v23, |v51|, |v53|, v23                          // 00000000559C: D1D30317 045E6B33
	v_max3_f32 v22, |v54|, |v56|, v22                          // 0000000055A4: D1D30316 045A7136
	v_max3_f32 v23, |v55|, |v57|, v23                          // 0000000055AC: D1D30317 045E7337
	v_max3_f32 v22, |v58|, |v60|, v22                          // 0000000055B4: D1D30316 045A793A
	v_max3_f32 v23, |v59|, |v61|, v23                          // 0000000055BC: D1D30317 045E7B3B
	v_mov_b32_e32 v42, 0x43700000                              // 0000000055C4: 7E5402FF 43700000
	v_rcp_f32_e32 v22, v22                                     // 0000000055CC: 7E2C4516
	v_rcp_f32_e32 v23, v23                                     // 0000000055D0: 7E2E4517
	s_nop 1                                                    // 0000000055D4: BF800001
	v_mul_f32_e32 v22, v42, v22                                // 0000000055D8: 0A2C2D2A
	v_mul_f32_e32 v23, v42, v23                                // 0000000055DC: 0A2E2F2A
	v_rcp_f32_e32 v24, v22                                     // 0000000055E0: 7E304516
	v_rcp_f32_e32 v25, v23                                     // 0000000055E4: 7E324517
	v_mov_b32_e32 v42, v22                                     // 0000000055E8: 7E540316
	v_mov_b32_e32 v43, v22                                     // 0000000055EC: 7E560316
	v_mov_b32_e32 v44, v23                                     // 0000000055F0: 7E580317
	v_mov_b32_e32 v45, v23                                     // 0000000055F4: 7E5A0317
	v_pk_mul_f32 v[168:169], v[42:43], v[168:169]              // 0000000055F8: D3B140A8 1803512A
	v_pk_mul_f32 v[170:171], v[42:43], v[170:171]              // 000000005600: D3B140AA 1803552A
	v_cvt_pk_fp8_f32 v168, v168, v169                          // 000000005608: D2A200A8 000353A8
	v_cvt_pk_fp8_f32 v168, v170, v171 op_sel:[0,0,1]           // 000000005610: D2A240A8 000357AA
	v_pk_mul_f32 v[172:173], v[44:45], v[172:173]              // 000000005618: D3B140AC 1803592C
	v_pk_mul_f32 v[174:175], v[44:45], v[174:175]              // 000000005620: D3B140AE 18035D2C
	v_cvt_pk_fp8_f32 v169, v172, v173                          // 000000005628: D2A200A9 00035BAC
	v_cvt_pk_fp8_f32 v169, v174, v175 op_sel:[0,0,1]           // 000000005630: D2A240A9 00035FAE
	v_pk_mul_f32 v[176:177], v[42:43], v[176:177]              // 000000005638: D3B140B0 1803612A
	v_pk_mul_f32 v[178:179], v[42:43], v[178:179]              // 000000005640: D3B140B2 1803652A
	v_cvt_pk_fp8_f32 v170, v176, v177                          // 000000005648: D2A200AA 000363B0
	v_cvt_pk_fp8_f32 v170, v178, v179 op_sel:[0,0,1]           // 000000005650: D2A240AA 000367B2
	v_pk_mul_f32 v[180:181], v[44:45], v[180:181]              // 000000005658: D3B140B4 1803692C
	v_pk_mul_f32 v[182:183], v[44:45], v[182:183]              // 000000005660: D3B140B6 18036D2C
	v_cvt_pk_fp8_f32 v171, v180, v181                          // 000000005668: D2A200AB 00036BB4
	v_cvt_pk_fp8_f32 v171, v182, v183 op_sel:[0,0,1]           // 000000005670: D2A240AB 00036FB6
	v_pk_mul_f32 v[184:185], v[42:43], v[184:185]              // 000000005678: D3B140B8 1803712A
	v_pk_mul_f32 v[186:187], v[42:43], v[186:187]              // 000000005680: D3B140BA 1803752A
	v_cvt_pk_fp8_f32 v172, v184, v185                          // 000000005688: D2A200AC 000373B8
	v_cvt_pk_fp8_f32 v172, v186, v187 op_sel:[0,0,1]           // 000000005690: D2A240AC 000377BA
	v_pk_mul_f32 v[188:189], v[44:45], v[188:189]              // 000000005698: D3B140BC 1803792C
	v_pk_mul_f32 v[190:191], v[44:45], v[190:191]              // 0000000056A0: D3B140BE 18037D2C
	v_cvt_pk_fp8_f32 v173, v188, v189                          // 0000000056A8: D2A200AD 00037BBC
	v_cvt_pk_fp8_f32 v173, v190, v191 op_sel:[0,0,1]           // 0000000056B0: D2A240AD 00037FBE
	v_pk_mul_f32 v[192:193], v[42:43], v[192:193]              // 0000000056B8: D3B140C0 1803812A
	v_pk_mul_f32 v[194:195], v[42:43], v[194:195]              // 0000000056C0: D3B140C2 1803852A
	v_cvt_pk_fp8_f32 v174, v192, v193                          // 0000000056C8: D2A200AE 000383C0
	v_cvt_pk_fp8_f32 v174, v194, v195 op_sel:[0,0,1]           // 0000000056D0: D2A240AE 000387C2
	v_pk_mul_f32 v[196:197], v[44:45], v[196:197]              // 0000000056D8: D3B140C4 1803892C
	v_pk_mul_f32 v[198:199], v[44:45], v[198:199]              // 0000000056E0: D3B140C6 18038D2C
	v_cvt_pk_fp8_f32 v175, v196, v197                          // 0000000056E8: D2A200AF 00038BC4
	v_cvt_pk_fp8_f32 v175, v198, v199 op_sel:[0,0,1]           // 0000000056F0: D2A240AF 00038FC6
	v_mfma_f32_16x16x32_fp8_fp8 v[84:87], a[124:125], v[228:229], v[84:87]// 0000000056F8: D3F30054 0D53C97C
	ds_write_b32 v12, v168 offset:2048                         // 000000005700: D81A0800 0000A80C
	ds_write_b32 v12, v169 offset:6144                         // 000000005708: D81A1800 0000A90C
	v_mfma_f32_16x16x32_fp8_fp8 v[84:87], a[126:127], v[230:231], v[84:87]// 000000005710: D3F30054 0D53CD7E
	s_waitcnt vmcnt(16)                                        // 000000005718: BF8C4F70
	v_mfma_f32_16x16x32_fp8_fp8 v[88:91], a[128:129], v[200:201], v[88:91]// 00000000571C: D3F30058 0D639180
	ds_write_b32 v12, v170 offset:3072                         // 000000005724: D81A0C00 0000AA0C
	ds_write_b32 v12, v171 offset:7168                         // 00000000572C: D81A1C00 0000AB0C
	v_mfma_f32_16x16x32_fp8_fp8 v[88:91], a[130:131], v[202:203], v[88:91]// 000000005734: D3F30058 0D639582
	buffer_load_dwordx4 a[48:51], v39, s[24:27], 0 offen       // 00000000573C: E05C1000 80863027
	v_mfma_f32_16x16x32_fp8_fp8 v[88:91], a[132:133], v[204:205], v[88:91]// 000000005744: D3F30058 0D639984
	ds_write_b32 v12, v172 offset:4096                         // 00000000574C: D81A1000 0000AC0C
	ds_write_b32 v12, v173 offset:8192                         // 000000005754: D81A2000 0000AD0C
	v_mfma_f32_16x16x32_fp8_fp8 v[88:91], a[134:135], v[206:207], v[88:91]// 00000000575C: D3F30058 0D639D86
	v_mfma_f32_16x16x32_fp8_fp8 v[88:91], a[136:137], v[208:209], v[88:91]// 000000005764: D3F30058 0D63A188
	ds_write_b32 v12, v174 offset:5120                         // 00000000576C: D81A1400 0000AE0C
	ds_write_b32 v12, v175 offset:9216                         // 000000005774: D81A2400 0000AF0C
	v_mfma_f32_16x16x32_fp8_fp8 v[88:91], a[138:139], v[210:211], v[88:91]// 00000000577C: D3F30058 0D63A58A
	buffer_load_dwordx4 a[52:55], v39, s[24:27], 0 offen offset:1024// 000000005784: E05C1400 80863427
	v_mfma_f32_16x16x32_fp8_fp8 v[88:91], a[140:141], v[212:213], v[88:91]// 00000000578C: D3F30058 0D63A98C
	v_mfma_f32_16x16x32_fp8_fp8 v[88:91], a[142:143], v[214:215], v[88:91]// 000000005794: D3F30058 0D63AD8E
	v_mfma_f32_16x16x32_fp8_fp8 v[92:95], a[128:129], v[216:217], v[92:95]// 00000000579C: D3F3005C 0D73B180
	v_mfma_f32_16x16x32_fp8_fp8 v[92:95], a[130:131], v[218:219], v[92:95]// 0000000057A4: D3F3005C 0D73B582
	buffer_load_dwordx4 a[56:59], v39, s[24:27], 0 offen offset:2048// 0000000057AC: E05C1800 80863827
	v_mfma_f32_16x16x32_fp8_fp8 v[92:95], a[132:133], v[220:221], v[92:95]// 0000000057B4: D3F3005C 0D73B984
	v_mfma_f32_16x16x32_fp8_fp8 v[92:95], a[134:135], v[222:223], v[92:95]// 0000000057BC: D3F3005C 0D73BD86
	s_waitcnt lgkmcnt(0)                                       // 0000000057C4: BF8CC07F
	s_barrier                                                  // 0000000057C8: BF8A0000
	v_mfma_f32_16x16x32_fp8_fp8 v[92:95], a[136:137], v[224:225], v[92:95]// 0000000057CC: D3F3005C 0D73C188
	ds_read_b64 v[168:169], v13 offset:2048                    // 0000000057D4: D8EC0800 A800000D
	ds_read_b64 v[170:171], v13 offset:2176                    // 0000000057DC: D8EC0880 AA00000D
	v_mfma_f32_16x16x32_fp8_fp8 v[92:95], a[138:139], v[226:227], v[92:95]// 0000000057E4: D3F3005C 0D73C58A
	buffer_load_dwordx4 a[60:63], v39, s[24:27], 0 offen offset:3072// 0000000057EC: E05C1C00 80863C27
	v_mfma_f32_16x16x32_fp8_fp8 v[92:95], a[140:141], v[228:229], v[92:95]// 0000000057F4: D3F3005C 0D73C98C
	ds_read_b64 v[172:173], v13 offset:3072                    // 0000000057FC: D8EC0C00 AC00000D
	ds_read_b64 v[174:175], v13 offset:3200                    // 000000005804: D8EC0C80 AE00000D
	v_mfma_f32_16x16x32_fp8_fp8 v[92:95], a[142:143], v[230:231], v[92:95]// 00000000580C: D3F3005C 0D73CD8E
	s_waitcnt vmcnt(16)                                        // 000000005814: BF8C4F70
	v_mfma_f32_16x16x32_fp8_fp8 v[96:99], a[144:145], v[200:201], v[96:99]// 000000005818: D3F30060 0D839190
	ds_read_b64 v[176:177], v13 offset:4096                    // 000000005820: D8EC1000 B000000D
	ds_read_b64 v[178:179], v13 offset:4224                    // 000000005828: D8EC1080 B200000D
	v_mfma_f32_16x16x32_fp8_fp8 v[96:99], a[146:147], v[202:203], v[96:99]// 000000005830: D3F30060 0D839592
	buffer_load_dwordx4 a[64:67], v40, s[24:27], 0 offen       // 000000005838: E05C1000 80864028
	v_mfma_f32_16x16x32_fp8_fp8 v[96:99], a[148:149], v[204:205], v[96:99]// 000000005840: D3F30060 0D839994
	ds_read_b64 v[180:181], v13 offset:5120                    // 000000005848: D8EC1400 B400000D
	ds_read_b64 v[182:183], v13 offset:5248                    // 000000005850: D8EC1480 B600000D
	v_mfma_f32_16x16x32_fp8_fp8 v[96:99], a[150:151], v[206:207], v[96:99]// 000000005858: D3F30060 0D839D96
	v_mfma_f32_16x16x32_fp8_fp8 v[96:99], a[152:153], v[208:209], v[96:99]// 000000005860: D3F30060 0D83A198
	ds_read_b64 v[184:185], v13 offset:6144                    // 000000005868: D8EC1800 B800000D
	ds_read_b64 v[186:187], v13 offset:6272                    // 000000005870: D8EC1880 BA00000D
	v_mfma_f32_16x16x32_fp8_fp8 v[96:99], a[154:155], v[210:211], v[96:99]// 000000005878: D3F30060 0D83A59A
	buffer_load_dwordx4 a[68:71], v40, s[24:27], 0 offen offset:1024// 000000005880: E05C1400 80864428
	v_mfma_f32_16x16x32_fp8_fp8 v[96:99], a[156:157], v[212:213], v[96:99]// 000000005888: D3F30060 0D83A99C
	ds_read_b64 v[188:189], v13 offset:7168                    // 000000005890: D8EC1C00 BC00000D
	ds_read_b64 v[190:191], v13 offset:7296                    // 000000005898: D8EC1C80 BE00000D
	v_mfma_f32_16x16x32_fp8_fp8 v[96:99], a[158:159], v[214:215], v[96:99]// 0000000058A0: D3F30060 0D83AD9E
	v_mfma_f32_16x16x32_fp8_fp8 v[100:103], a[144:145], v[216:217], v[100:103]// 0000000058A8: D3F30064 0D93B190
	ds_read_b64 v[192:193], v13 offset:8192                    // 0000000058B0: D8EC2000 C000000D
	ds_read_b64 v[194:195], v13 offset:8320                    // 0000000058B8: D8EC2080 C200000D
	v_mfma_f32_16x16x32_fp8_fp8 v[100:103], a[146:147], v[218:219], v[100:103]// 0000000058C0: D3F30064 0D93B592
	buffer_load_dwordx4 a[72:75], v40, s[24:27], 0 offen offset:2048// 0000000058C8: E05C1800 80864828
	v_mfma_f32_16x16x32_fp8_fp8 v[100:103], a[148:149], v[220:221], v[100:103]// 0000000058D0: D3F30064 0D93B994
	ds_read_b64 v[196:197], v13 offset:9216                    // 0000000058D8: D8EC2400 C400000D
	ds_read_b64 v[198:199], v13 offset:9344                    // 0000000058E0: D8EC2480 C600000D
	v_mfma_f32_16x16x32_fp8_fp8 v[100:103], a[150:151], v[222:223], v[100:103]// 0000000058E8: D3F30064 0D93BD96
	v_mfma_f32_16x16x32_fp8_fp8 v[100:103], a[152:153], v[224:225], v[100:103]// 0000000058F0: D3F30064 0D93C198
	v_mfma_f32_16x16x32_fp8_fp8 v[100:103], a[154:155], v[226:227], v[100:103]// 0000000058F8: D3F30064 0D93C59A
	buffer_load_dwordx4 a[76:79], v40, s[24:27], 0 offen offset:3072// 000000005900: E05C1C00 80864C28
	v_mfma_f32_16x16x32_fp8_fp8 v[100:103], a[156:157], v[228:229], v[100:103]// 000000005908: D3F30064 0D93C99C
	v_mfma_f32_16x16x32_fp8_fp8 v[100:103], a[158:159], v[230:231], v[100:103]// 000000005910: D3F30064 0D93CD9E
	s_add_u32 s60, 0x200, s80                                  // 000000005918: 803C50FF 00000200
	s_cmp_lt_u32 s60, s81                                      // 000000005920: BF0A513C
	s_cselect_b32 s57, s57, 0                                  // 000000005924: 85398039
	s_cselect_b32 s91, s91, 0                                  // 000000005928: 855B805B
	s_add_u32 s60, 0x200, s80                                  // 00000000592C: 803C50FF 00000200
	s_cmp_lt_u32 s60, s81                                      // 000000005934: BF0A513C
	s_cselect_b32 s58, s58, 0                                  // 000000005938: 853A803A
	s_add_u32 s20, s57, s20                                    // 00000000593C: 80141439
	s_addc_u32 s21, 0, s21                                     // 000000005940: 82151580
	s_add_u32 s28, s91, s28                                    // 000000005944: 801C1C5B
	s_addc_u32 s29, 0, s29                                     // 000000005948: 821D1D80
	s_add_u32 s24, s58, s24                                    // 00000000594C: 8018183A
	s_addc_u32 s25, 0, s25                                     // 000000005950: 82191980
	s_add_u32 s92, s90, s92                                    // 000000005954: 805C5C5A
	s_addc_u32 s93, 0, s93                                     // 000000005958: 825D5D80
	v_mov_b32_e32 v42, v26                                     // 00000000595C: 7E54031A
	v_mov_b32_e32 v44, v27                                     // 000000005960: 7E58031B
	v_mov_b32_e32 v43, v42                                     // 000000005964: 7E56032A
	v_mov_b32_e32 v45, v44                                     // 000000005968: 7E5A032C
	v_pk_mul_f32 v[64:65], v[42:43], v[64:65]                  // 00000000596C: D3B14040 1802812A
	v_pk_mul_f32 v[66:67], v[42:43], v[66:67]                  // 000000005974: D3B14042 1802852A
	v_pk_mul_f32 v[68:69], v[44:45], v[68:69]                  // 00000000597C: D3B14044 1802892C
	v_pk_mul_f32 v[70:71], v[44:45], v[70:71]                  // 000000005984: D3B14046 18028D2C
	v_pk_mul_f32 v[72:73], v[42:43], v[72:73]                  // 00000000598C: D3B14048 1802912A
	v_pk_mul_f32 v[74:75], v[42:43], v[74:75]                  // 000000005994: D3B1404A 1802952A
	v_pk_mul_f32 v[76:77], v[44:45], v[76:77]                  // 00000000599C: D3B1404C 1802992C
	v_pk_mul_f32 v[78:79], v[44:45], v[78:79]                  // 0000000059A4: D3B1404E 18029D2C
	v_pk_mul_f32 v[80:81], v[42:43], v[80:81]                  // 0000000059AC: D3B14050 1802A12A
	v_pk_mul_f32 v[82:83], v[42:43], v[82:83]                  // 0000000059B4: D3B14052 1802A52A
	v_pk_mul_f32 v[84:85], v[44:45], v[84:85]                  // 0000000059BC: D3B14054 1802A92C
	v_pk_mul_f32 v[86:87], v[44:45], v[86:87]                  // 0000000059C4: D3B14056 1802AD2C
	v_pk_mul_f32 v[88:89], v[42:43], v[88:89]                  // 0000000059CC: D3B14058 1802B12A
	v_pk_mul_f32 v[90:91], v[42:43], v[90:91]                  // 0000000059D4: D3B1405A 1802B52A
	v_pk_mul_f32 v[92:93], v[44:45], v[92:93]                  // 0000000059DC: D3B1405C 1802B92C
	v_pk_mul_f32 v[94:95], v[44:45], v[94:95]                  // 0000000059E4: D3B1405E 1802BD2C
	v_pk_mul_f32 v[96:97], v[42:43], v[96:97]                  // 0000000059EC: D3B14060 1802C12A
	v_pk_mul_f32 v[98:99], v[42:43], v[98:99]                  // 0000000059F4: D3B14062 1802C52A
	v_pk_mul_f32 v[100:101], v[44:45], v[100:101]              // 0000000059FC: D3B14064 1802C92C
	v_pk_mul_f32 v[102:103], v[44:45], v[102:103]              // 000000005A04: D3B14066 1802CD2C
	s_addk_i32 s80, 0x100                                      // 000000005A0C: B7500100
	s_cmp_lt_i32 s80, s81                                      // 000000005A10: BF045150
	s_cbranch_scc0 label_0BC7                                  // 000000005A14: BF840001
	s_branch label_03CA                                        // 000000005A18: BF82F803

0000000000005a1c <label_0BC7>:
	s_mov_b32 s36, -1                                          // 000000005A1C: BEA400C1
	s_mov_b32 s37, -1                                          // 000000005A20: BEA500C1
	s_mov_b64 s[60:61], 0                                      // 000000005A24: BEBC0180
	s_cmp_lt_u32 s82, s66                                      // 000000005A28: BF0A4252
	s_cselect_b64 s[20:21], s[36:37], s[60:61]                 // 000000005A2C: 85943C24
	s_cmp_lt_u32 s83, s66                                      // 000000005A30: BF0A4253
	s_cselect_b64 s[22:23], s[36:37], s[60:61]                 // 000000005A34: 85963C24
	s_cmp_lt_u32 s84, s66                                      // 000000005A38: BF0A4254
	s_cselect_b64 s[24:25], s[36:37], s[60:61]                 // 000000005A3C: 85983C24
	s_cmp_lt_u32 s85, s66                                      // 000000005A40: BF0A4255
	s_cselect_b64 s[26:27], s[36:37], s[60:61]                 // 000000005A44: 859A3C24
	s_cmp_lt_u32 s86, s66                                      // 000000005A48: BF0A4256
	s_cselect_b64 s[28:29], s[36:37], s[60:61]                 // 000000005A4C: 859C3C24
	s_cmp_lt_u32 s87, s66                                      // 000000005A50: BF0A4257
	s_cselect_b64 s[30:31], s[36:37], s[60:61]                 // 000000005A54: 859E3C24
	s_cmp_lt_u32 s88, s66                                      // 000000005A58: BF0A4258
	s_cselect_b64 s[32:33], s[36:37], s[60:61]                 // 000000005A5C: 85A03C24
	s_cmp_lt_u32 s89, s66                                      // 000000005A60: BF0A4259
	s_cselect_b64 s[34:35], s[36:37], s[60:61]                 // 000000005A64: 85A23C24
	v_mov_b32_e32 v54, 0xbfcc4231                              // 000000005A68: 7E6C02FF BFCC4231
	v_mov_b32_e32 v55, 0xbfcc4231                              // 000000005A70: 7E6E02FF BFCC4231
	v_mov_b32_e32 v51, 0xffff0000                              // 000000005A78: 7E6602FF FFFF0000
	v_mov_b32_e32 v52, 0x7fff0000                              // 000000005A80: 7E6802FF 7FFF0000
	v_mov_b32_e32 v53, 0x7fff                                  // 000000005A88: 7E6A02FF 00007FFF
	s_mul_i32 s60, s5, 16                                      // 000000005A90: 923C9005
	s_mul_i32 s60, s60, s70                                    // 000000005A94: 923C463C
	v_lshlrev_b32_e32 v46, 4, v0                               // 000000005A98: 245C0084
	v_add_u32_e32 v46, s60, v46                                // 000000005A9C: 685C5C3C
	s_mul_i32 s60, 64, s70                                     // 000000005AA0: 923C46C0
	v_add_u32_e32 v47, s60, v46                                // 000000005AA4: 685E5C3C
	v_add_u32_e32 v48, s60, v47                                // 000000005AA8: 68605E3C
	v_add_u32_e32 v49, s60, v48                                // 000000005AAC: 6862603C
	v_lshrrev_b32_e32 v42, 4, v0                               // 000000005AB0: 20540084
	v_mul_i32_i24_e32 v3, 34, v42                              // 000000005AB4: 0C0654A2
	v_and_b32_e32 v42, 15, v0                                  // 000000005AB8: 2654008F
	v_mul_i32_i24_e32 v43, 2, v42                              // 000000005ABC: 0C565482
	v_add_u32_e32 v3, v43, v3                                  // 000000005AC0: 6806072B
	s_mul_i32 s60, s5, 0x88                                    // 000000005AC4: 923CFF05 00000088
	v_add_u32_e32 v3, s60, v3                                  // 000000005ACC: 6806063C
	v_lshlrev_b32_e32 v3, 2, v3                                // 000000005AD0: 24060682
	v_lshrrev_b32_e32 v42, 1, v0                               // 000000005AD4: 20540081
	v_mul_i32_i24_e32 v4, 34, v42                              // 000000005AD8: 0C0854A2
	v_and_b32_e32 v43, 1, v0                                   // 000000005ADC: 26560081
	v_add_u32_e32 v4, v43, v4                                  // 000000005AE0: 6808092B
	s_mul_i32 s60, s5, 2                                       // 000000005AE4: 923C8205
	v_add_u32_e32 v4, s60, v4                                  // 000000005AE8: 6808083C
	v_lshlrev_b32_e32 v4, 2, v4                                // 000000005AEC: 24080882
	v_mul_f32_dpp v128, v16, v128 row_newbcast:0 row_mask:0xf bank_mask:0xf// 000000005AF0: 0B0100FA FF015010
	v_mul_f32_dpp v129, v16, v129 row_newbcast:1 row_mask:0xf bank_mask:0xf// 000000005AF8: 0B0302FA FF015110
	v_mul_f32_dpp v130, v16, v130 row_newbcast:2 row_mask:0xf bank_mask:0xf// 000000005B00: 0B0504FA FF015210
	v_mul_f32_dpp v131, v16, v131 row_newbcast:3 row_mask:0xf bank_mask:0xf// 000000005B08: 0B0706FA FF015310
	v_mul_f32_dpp v132, v16, v132 row_newbcast:0 row_mask:0xf bank_mask:0xf// 000000005B10: 0B0908FA FF015010
	v_mul_f32_dpp v133, v16, v133 row_newbcast:1 row_mask:0xf bank_mask:0xf// 000000005B18: 0B0B0AFA FF015110
	v_mul_f32_dpp v134, v16, v134 row_newbcast:2 row_mask:0xf bank_mask:0xf// 000000005B20: 0B0D0CFA FF015210
	v_mul_f32_dpp v135, v16, v135 row_newbcast:3 row_mask:0xf bank_mask:0xf// 000000005B28: 0B0F0EFA FF015310
	v_mul_f32_dpp v136, v16, v136 row_newbcast:4 row_mask:0xf bank_mask:0xf// 000000005B30: 0B1110FA FF015410
	v_mul_f32_dpp v137, v16, v137 row_newbcast:5 row_mask:0xf bank_mask:0xf// 000000005B38: 0B1312FA FF015510
	v_mul_f32_dpp v138, v16, v138 row_newbcast:6 row_mask:0xf bank_mask:0xf// 000000005B40: 0B1514FA FF015610
	v_mul_f32_dpp v139, v16, v139 row_newbcast:7 row_mask:0xf bank_mask:0xf// 000000005B48: 0B1716FA FF015710
	v_mul_f32_dpp v140, v16, v140 row_newbcast:4 row_mask:0xf bank_mask:0xf// 000000005B50: 0B1918FA FF015410
	v_mul_f32_dpp v141, v16, v141 row_newbcast:5 row_mask:0xf bank_mask:0xf// 000000005B58: 0B1B1AFA FF015510
	v_mul_f32_dpp v142, v16, v142 row_newbcast:6 row_mask:0xf bank_mask:0xf// 000000005B60: 0B1D1CFA FF015610
	v_mul_f32_dpp v143, v16, v143 row_newbcast:7 row_mask:0xf bank_mask:0xf// 000000005B68: 0B1F1EFA FF015710
	v_mul_f32_dpp v144, v16, v144 row_newbcast:8 row_mask:0xf bank_mask:0xf// 000000005B70: 0B2120FA FF015810
	v_mul_f32_dpp v145, v16, v145 row_newbcast:9 row_mask:0xf bank_mask:0xf// 000000005B78: 0B2322FA FF015910
	v_mul_f32_dpp v146, v16, v146 row_newbcast:10 row_mask:0xf bank_mask:0xf// 000000005B80: 0B2524FA FF015A10
	v_mul_f32_dpp v147, v16, v147 row_newbcast:11 row_mask:0xf bank_mask:0xf// 000000005B88: 0B2726FA FF015B10
	v_mul_f32_dpp v148, v16, v148 row_newbcast:8 row_mask:0xf bank_mask:0xf// 000000005B90: 0B2928FA FF015810
	v_mul_f32_dpp v149, v16, v149 row_newbcast:9 row_mask:0xf bank_mask:0xf// 000000005B98: 0B2B2AFA FF015910
	v_mul_f32_dpp v150, v16, v150 row_newbcast:10 row_mask:0xf bank_mask:0xf// 000000005BA0: 0B2D2CFA FF015A10
	v_mul_f32_dpp v151, v16, v151 row_newbcast:11 row_mask:0xf bank_mask:0xf// 000000005BA8: 0B2F2EFA FF015B10
	v_mul_f32_dpp v152, v16, v152 row_newbcast:12 row_mask:0xf bank_mask:0xf// 000000005BB0: 0B3130FA FF015C10
	v_mul_f32_dpp v153, v16, v153 row_newbcast:13 row_mask:0xf bank_mask:0xf// 000000005BB8: 0B3332FA FF015D10
	v_mul_f32_dpp v154, v16, v154 row_newbcast:14 row_mask:0xf bank_mask:0xf// 000000005BC0: 0B3534FA FF015E10
	v_mul_f32_dpp v155, v16, v155 row_newbcast:15 row_mask:0xf bank_mask:0xf// 000000005BC8: 0B3736FA FF015F10
	v_mul_f32_dpp v156, v16, v156 row_newbcast:12 row_mask:0xf bank_mask:0xf// 000000005BD0: 0B3938FA FF015C10
	v_mul_f32_dpp v157, v16, v157 row_newbcast:13 row_mask:0xf bank_mask:0xf// 000000005BD8: 0B3B3AFA FF015D10
	v_mul_f32_dpp v158, v16, v158 row_newbcast:14 row_mask:0xf bank_mask:0xf// 000000005BE0: 0B3D3CFA FF015E10
	v_mul_f32_dpp v159, v16, v159 row_newbcast:15 row_mask:0xf bank_mask:0xf// 000000005BE8: 0B3F3EFA FF015F10
	v_mul_f32_dpp v160, v17, v160 row_newbcast:0 row_mask:0xf bank_mask:0xf// 000000005BF0: 0B4140FA FF015011
	v_mul_f32_dpp v161, v17, v161 row_newbcast:1 row_mask:0xf bank_mask:0xf// 000000005BF8: 0B4342FA FF015111
	v_mul_f32_dpp v162, v17, v162 row_newbcast:2 row_mask:0xf bank_mask:0xf// 000000005C00: 0B4544FA FF015211
	v_mul_f32_dpp v163, v17, v163 row_newbcast:3 row_mask:0xf bank_mask:0xf// 000000005C08: 0B4746FA FF015311
	v_mul_f32_dpp v164, v17, v164 row_newbcast:0 row_mask:0xf bank_mask:0xf// 000000005C10: 0B4948FA FF015011
	v_mul_f32_dpp v165, v17, v165 row_newbcast:1 row_mask:0xf bank_mask:0xf// 000000005C18: 0B4B4AFA FF015111
	v_mul_f32_dpp v166, v17, v166 row_newbcast:2 row_mask:0xf bank_mask:0xf// 000000005C20: 0B4D4CFA FF015211
	v_mul_f32_dpp v167, v17, v167 row_newbcast:3 row_mask:0xf bank_mask:0xf// 000000005C28: 0B4F4EFA FF015311
	v_mul_f32_dpp v64, v8, v64 row_newbcast:0 row_mask:0xf bank_mask:0xf// 000000005C30: 0A8080FA FF015008
	v_mul_f32_dpp v65, v8, v65 row_newbcast:1 row_mask:0xf bank_mask:0xf// 000000005C38: 0A8282FA FF015108
	v_mul_f32_dpp v66, v8, v66 row_newbcast:2 row_mask:0xf bank_mask:0xf// 000000005C40: 0A8484FA FF015208
	v_mul_f32_dpp v67, v8, v67 row_newbcast:3 row_mask:0xf bank_mask:0xf// 000000005C48: 0A8686FA FF015308
	v_mul_f32_dpp v68, v8, v68 row_newbcast:0 row_mask:0xf bank_mask:0xf// 000000005C50: 0A8888FA FF015008
	v_mul_f32_dpp v69, v8, v69 row_newbcast:1 row_mask:0xf bank_mask:0xf// 000000005C58: 0A8A8AFA FF015108
	v_mul_f32_dpp v70, v8, v70 row_newbcast:2 row_mask:0xf bank_mask:0xf// 000000005C60: 0A8C8CFA FF015208
	v_mul_f32_dpp v71, v8, v71 row_newbcast:3 row_mask:0xf bank_mask:0xf// 000000005C68: 0A8E8EFA FF015308
	v_mul_f32_dpp v72, v8, v72 row_newbcast:4 row_mask:0xf bank_mask:0xf// 000000005C70: 0A9090FA FF015408
	v_mul_f32_dpp v73, v8, v73 row_newbcast:5 row_mask:0xf bank_mask:0xf// 000000005C78: 0A9292FA FF015508
	v_mul_f32_dpp v74, v8, v74 row_newbcast:6 row_mask:0xf bank_mask:0xf// 000000005C80: 0A9494FA FF015608
	v_mul_f32_dpp v75, v8, v75 row_newbcast:7 row_mask:0xf bank_mask:0xf// 000000005C88: 0A9696FA FF015708
	v_mul_f32_dpp v76, v8, v76 row_newbcast:4 row_mask:0xf bank_mask:0xf// 000000005C90: 0A9898FA FF015408
	v_mul_f32_dpp v77, v8, v77 row_newbcast:5 row_mask:0xf bank_mask:0xf// 000000005C98: 0A9A9AFA FF015508
	v_mul_f32_dpp v78, v8, v78 row_newbcast:6 row_mask:0xf bank_mask:0xf// 000000005CA0: 0A9C9CFA FF015608
	v_mul_f32_dpp v79, v8, v79 row_newbcast:7 row_mask:0xf bank_mask:0xf// 000000005CA8: 0A9E9EFA FF015708
	v_mul_f32_dpp v80, v8, v80 row_newbcast:8 row_mask:0xf bank_mask:0xf// 000000005CB0: 0AA0A0FA FF015808
	v_mul_f32_dpp v81, v8, v81 row_newbcast:9 row_mask:0xf bank_mask:0xf// 000000005CB8: 0AA2A2FA FF015908
	v_mul_f32_dpp v82, v8, v82 row_newbcast:10 row_mask:0xf bank_mask:0xf// 000000005CC0: 0AA4A4FA FF015A08
	v_mul_f32_dpp v83, v8, v83 row_newbcast:11 row_mask:0xf bank_mask:0xf// 000000005CC8: 0AA6A6FA FF015B08
	v_mul_f32_dpp v84, v8, v84 row_newbcast:8 row_mask:0xf bank_mask:0xf// 000000005CD0: 0AA8A8FA FF015808
	v_mul_f32_dpp v85, v8, v85 row_newbcast:9 row_mask:0xf bank_mask:0xf// 000000005CD8: 0AAAAAFA FF015908
	v_mul_f32_dpp v86, v8, v86 row_newbcast:10 row_mask:0xf bank_mask:0xf// 000000005CE0: 0AACACFA FF015A08
	v_mul_f32_dpp v87, v8, v87 row_newbcast:11 row_mask:0xf bank_mask:0xf// 000000005CE8: 0AAEAEFA FF015B08
	v_mul_f32_dpp v88, v8, v88 row_newbcast:12 row_mask:0xf bank_mask:0xf// 000000005CF0: 0AB0B0FA FF015C08
	v_mul_f32_dpp v89, v8, v89 row_newbcast:13 row_mask:0xf bank_mask:0xf// 000000005CF8: 0AB2B2FA FF015D08
	v_mul_f32_dpp v90, v8, v90 row_newbcast:14 row_mask:0xf bank_mask:0xf// 000000005D00: 0AB4B4FA FF015E08
	v_mul_f32_dpp v91, v8, v91 row_newbcast:15 row_mask:0xf bank_mask:0xf// 000000005D08: 0AB6B6FA FF015F08
	v_mul_f32_dpp v92, v8, v92 row_newbcast:12 row_mask:0xf bank_mask:0xf// 000000005D10: 0AB8B8FA FF015C08
	v_mul_f32_dpp v93, v8, v93 row_newbcast:13 row_mask:0xf bank_mask:0xf// 000000005D18: 0ABABAFA FF015D08
	v_mul_f32_dpp v94, v8, v94 row_newbcast:14 row_mask:0xf bank_mask:0xf// 000000005D20: 0ABCBCFA FF015E08
	v_mul_f32_dpp v95, v8, v95 row_newbcast:15 row_mask:0xf bank_mask:0xf// 000000005D28: 0ABEBEFA FF015F08
	v_mul_f32_dpp v96, v9, v96 row_newbcast:0 row_mask:0xf bank_mask:0xf// 000000005D30: 0AC0C0FA FF015009
	v_mul_f32_dpp v97, v9, v97 row_newbcast:1 row_mask:0xf bank_mask:0xf// 000000005D38: 0AC2C2FA FF015109
	v_mul_f32_dpp v98, v9, v98 row_newbcast:2 row_mask:0xf bank_mask:0xf// 000000005D40: 0AC4C4FA FF015209
	v_mul_f32_dpp v99, v9, v99 row_newbcast:3 row_mask:0xf bank_mask:0xf// 000000005D48: 0AC6C6FA FF015309
	v_mul_f32_dpp v100, v9, v100 row_newbcast:0 row_mask:0xf bank_mask:0xf// 000000005D50: 0AC8C8FA FF015009
	v_mul_f32_dpp v101, v9, v101 row_newbcast:1 row_mask:0xf bank_mask:0xf// 000000005D58: 0ACACAFA FF015109
	v_mul_f32_dpp v102, v9, v102 row_newbcast:2 row_mask:0xf bank_mask:0xf// 000000005D60: 0ACCCCFA FF015209
	v_mul_f32_dpp v103, v9, v103 row_newbcast:3 row_mask:0xf bank_mask:0xf// 000000005D68: 0ACECEFA FF015309
	s_waitcnt vmcnt(16)                                        // 000000005D70: BF8C4F70
	buffer_load_dwordx4 a[0:3], v46, s[12:15], 0 offen         // 000000005D74: E05C1000 8083002E
	v_mul_f32_e64 v42, -v128, s6                               // 000000005D7C: D105002A 20000D80
	v_mul_f32_e64 v43, -v129, s6                               // 000000005D84: D105002B 20000D81
	v_mul_f32_e64 v44, -v130, s6                               // 000000005D8C: D105002C 20000D82
	v_mul_f32_e64 v45, -v131, s6                               // 000000005D94: D105002D 20000D83
	v_exp_f32_e32 v42, v42                                     // 000000005D9C: 7E54412A
	v_exp_f32_e32 v43, v43                                     // 000000005DA0: 7E56412B
	v_exp_f32_e32 v44, v44                                     // 000000005DA4: 7E58412C
	v_exp_f32_e32 v45, v45                                     // 000000005DA8: 7E5A412D
	buffer_load_dwordx4 a[4:7], v47, s[12:15], 0 offen         // 000000005DAC: E05C1000 8083042F
	v_add_f32_e64 v42, v42, 1.0                                // 000000005DB4: D101002A 0001E52A
	v_add_f32_e64 v43, v43, 1.0                                // 000000005DBC: D101002B 0001E52B
	v_add_f32_e64 v44, v44, 1.0                                // 000000005DC4: D101002C 0001E52C
	v_add_f32_e64 v45, v45, 1.0                                // 000000005DCC: D101002D 0001E52D
	v_rcp_f32_e32 v42, v42                                     // 000000005DD4: 7E54452A
	v_rcp_f32_e32 v43, v43                                     // 000000005DD8: 7E56452B
	v_rcp_f32_e32 v44, v44                                     // 000000005DDC: 7E58452C
	v_rcp_f32_e32 v45, v45                                     // 000000005DE0: 7E5A452D
	v_pk_mul_f32 v[128:129], v[128:129], v[42:43]              // 000000005DE4: D3B14080 18025580
	v_pk_mul_f32 v[130:131], v[130:131], v[44:45]              // 000000005DEC: D3B14082 18025982
	v_pk_mul_f32 v[128:129], v[128:129], v[64:65]              // 000000005DF4: D3B14080 18028180
	v_pk_mul_f32 v[130:131], v[130:131], v[66:67]              // 000000005DFC: D3B14082 18028582
	buffer_load_dwordx4 a[8:11], v48, s[12:15], 0 offen        // 000000005E04: E05C1000 80830830
	v_mul_f32_e64 v42, -v132, s6                               // 000000005E0C: D105002A 20000D84
	v_mul_f32_e64 v43, -v133, s6                               // 000000005E14: D105002B 20000D85
	v_mul_f32_e64 v44, -v134, s6                               // 000000005E1C: D105002C 20000D86
	v_mul_f32_e64 v45, -v135, s6                               // 000000005E24: D105002D 20000D87
	v_exp_f32_e32 v42, v42                                     // 000000005E2C: 7E54412A
	v_exp_f32_e32 v43, v43                                     // 000000005E30: 7E56412B
	v_exp_f32_e32 v44, v44                                     // 000000005E34: 7E58412C
	v_exp_f32_e32 v45, v45                                     // 000000005E38: 7E5A412D
	buffer_load_dwordx4 a[12:15], v49, s[12:15], 0 offen       // 000000005E3C: E05C1000 80830C31
	s_add_u32 s12, s78, s12                                    // 000000005E44: 800C0C4E
	s_addc_u32 s13, 0, s13                                     // 000000005E48: 820D0D80
	v_add_f32_e64 v42, v42, 1.0                                // 000000005E4C: D101002A 0001E52A
	v_add_f32_e64 v43, v43, 1.0                                // 000000005E54: D101002B 0001E52B
	v_add_f32_e64 v44, v44, 1.0                                // 000000005E5C: D101002C 0001E52C
	v_add_f32_e64 v45, v45, 1.0                                // 000000005E64: D101002D 0001E52D
	v_rcp_f32_e32 v42, v42                                     // 000000005E6C: 7E54452A
	v_rcp_f32_e32 v43, v43                                     // 000000005E70: 7E56452B
	v_rcp_f32_e32 v44, v44                                     // 000000005E74: 7E58452C
	v_rcp_f32_e32 v45, v45                                     // 000000005E78: 7E5A452D
	v_pk_mul_f32 v[132:133], v[132:133], v[42:43]              // 000000005E7C: D3B14084 18025584
	v_pk_mul_f32 v[134:135], v[134:135], v[44:45]              // 000000005E84: D3B14086 18025986
	v_pk_mul_f32 v[132:133], v[132:133], v[68:69]              // 000000005E8C: D3B14084 18028984
	v_pk_mul_f32 v[134:135], v[134:135], v[70:71]              // 000000005E94: D3B14086 18028D86
	s_waitcnt vmcnt(16)                                        // 000000005E9C: BF8C4F70
	buffer_load_dwordx4 a[16:19], v46, s[12:15], 0 offen       // 000000005EA0: E05C1000 8083102E
	v_mul_f32_e64 v42, -v136, s6                               // 000000005EA8: D105002A 20000D88
	v_mul_f32_e64 v43, -v137, s6                               // 000000005EB0: D105002B 20000D89
	v_mul_f32_e64 v44, -v138, s6                               // 000000005EB8: D105002C 20000D8A
	v_mul_f32_e64 v45, -v139, s6                               // 000000005EC0: D105002D 20000D8B
	v_exp_f32_e32 v42, v42                                     // 000000005EC8: 7E54412A
	v_exp_f32_e32 v43, v43                                     // 000000005ECC: 7E56412B
	v_exp_f32_e32 v44, v44                                     // 000000005ED0: 7E58412C
	v_exp_f32_e32 v45, v45                                     // 000000005ED4: 7E5A412D
	buffer_load_dwordx4 a[20:23], v47, s[12:15], 0 offen       // 000000005ED8: E05C1000 8083142F
	v_add_f32_e64 v42, v42, 1.0                                // 000000005EE0: D101002A 0001E52A
	v_add_f32_e64 v43, v43, 1.0                                // 000000005EE8: D101002B 0001E52B
	v_add_f32_e64 v44, v44, 1.0                                // 000000005EF0: D101002C 0001E52C
	v_add_f32_e64 v45, v45, 1.0                                // 000000005EF8: D101002D 0001E52D
	v_rcp_f32_e32 v42, v42                                     // 000000005F00: 7E54452A
	v_rcp_f32_e32 v43, v43                                     // 000000005F04: 7E56452B
	v_rcp_f32_e32 v44, v44                                     // 000000005F08: 7E58452C
	v_rcp_f32_e32 v45, v45                                     // 000000005F0C: 7E5A452D
	v_pk_mul_f32 v[136:137], v[136:137], v[42:43]              // 000000005F10: D3B14088 18025588
	v_pk_mul_f32 v[138:139], v[138:139], v[44:45]              // 000000005F18: D3B1408A 1802598A
	v_pk_mul_f32 v[136:137], v[136:137], v[72:73]              // 000000005F20: D3B14088 18029188
	v_pk_mul_f32 v[138:139], v[138:139], v[74:75]              // 000000005F28: D3B1408A 1802958A
	buffer_load_dwordx4 a[24:27], v48, s[12:15], 0 offen       // 000000005F30: E05C1000 80831830
	v_mul_f32_e64 v42, -v140, s6                               // 000000005F38: D105002A 20000D8C
	v_mul_f32_e64 v43, -v141, s6                               // 000000005F40: D105002B 20000D8D
	v_mul_f32_e64 v44, -v142, s6                               // 000000005F48: D105002C 20000D8E
	v_mul_f32_e64 v45, -v143, s6                               // 000000005F50: D105002D 20000D8F
	v_exp_f32_e32 v42, v42                                     // 000000005F58: 7E54412A
	v_exp_f32_e32 v43, v43                                     // 000000005F5C: 7E56412B
	v_exp_f32_e32 v44, v44                                     // 000000005F60: 7E58412C
	v_exp_f32_e32 v45, v45                                     // 000000005F64: 7E5A412D
	buffer_load_dwordx4 a[28:31], v49, s[12:15], 0 offen       // 000000005F68: E05C1000 80831C31
	s_add_u32 s12, s78, s12                                    // 000000005F70: 800C0C4E
	s_addc_u32 s13, 0, s13                                     // 000000005F74: 820D0D80
	v_add_f32_e64 v42, v42, 1.0                                // 000000005F78: D101002A 0001E52A
	v_add_f32_e64 v43, v43, 1.0                                // 000000005F80: D101002B 0001E52B
	v_add_f32_e64 v44, v44, 1.0                                // 000000005F88: D101002C 0001E52C
	v_add_f32_e64 v45, v45, 1.0                                // 000000005F90: D101002D 0001E52D
	v_rcp_f32_e32 v42, v42                                     // 000000005F98: 7E54452A
	v_rcp_f32_e32 v43, v43                                     // 000000005F9C: 7E56452B
	v_rcp_f32_e32 v44, v44                                     // 000000005FA0: 7E58452C
	v_rcp_f32_e32 v45, v45                                     // 000000005FA4: 7E5A452D
	v_pk_mul_f32 v[140:141], v[140:141], v[42:43]              // 000000005FA8: D3B1408C 1802558C
	v_pk_mul_f32 v[142:143], v[142:143], v[44:45]              // 000000005FB0: D3B1408E 1802598E
	v_pk_mul_f32 v[140:141], v[140:141], v[76:77]              // 000000005FB8: D3B1408C 1802998C
	v_pk_mul_f32 v[142:143], v[142:143], v[78:79]              // 000000005FC0: D3B1408E 18029D8E
	s_waitcnt vmcnt(16)                                        // 000000005FC8: BF8C4F70
	buffer_load_dwordx4 a[32:35], v46, s[12:15], 0 offen       // 000000005FCC: E05C1000 8083202E
	v_mul_f32_e64 v42, -v144, s6                               // 000000005FD4: D105002A 20000D90
	v_mul_f32_e64 v43, -v145, s6                               // 000000005FDC: D105002B 20000D91
	v_mul_f32_e64 v44, -v146, s6                               // 000000005FE4: D105002C 20000D92
	v_mul_f32_e64 v45, -v147, s6                               // 000000005FEC: D105002D 20000D93
	v_exp_f32_e32 v42, v42                                     // 000000005FF4: 7E54412A
	v_exp_f32_e32 v43, v43                                     // 000000005FF8: 7E56412B
	v_exp_f32_e32 v44, v44                                     // 000000005FFC: 7E58412C
	v_exp_f32_e32 v45, v45                                     // 000000006000: 7E5A412D
	buffer_load_dwordx4 a[36:39], v47, s[12:15], 0 offen       // 000000006004: E05C1000 8083242F
	v_add_f32_e64 v42, v42, 1.0                                // 00000000600C: D101002A 0001E52A
	v_add_f32_e64 v43, v43, 1.0                                // 000000006014: D101002B 0001E52B
	v_add_f32_e64 v44, v44, 1.0                                // 00000000601C: D101002C 0001E52C
	v_add_f32_e64 v45, v45, 1.0                                // 000000006024: D101002D 0001E52D
	v_rcp_f32_e32 v42, v42                                     // 00000000602C: 7E54452A
	v_rcp_f32_e32 v43, v43                                     // 000000006030: 7E56452B
	v_rcp_f32_e32 v44, v44                                     // 000000006034: 7E58452C
	v_rcp_f32_e32 v45, v45                                     // 000000006038: 7E5A452D
	v_pk_mul_f32 v[144:145], v[144:145], v[42:43]              // 00000000603C: D3B14090 18025590
	v_pk_mul_f32 v[146:147], v[146:147], v[44:45]              // 000000006044: D3B14092 18025992
	v_pk_mul_f32 v[144:145], v[144:145], v[80:81]              // 00000000604C: D3B14090 1802A190
	v_pk_mul_f32 v[146:147], v[146:147], v[82:83]              // 000000006054: D3B14092 1802A592
	buffer_load_dwordx4 a[40:43], v48, s[12:15], 0 offen       // 00000000605C: E05C1000 80832830
	v_mul_f32_e64 v42, -v148, s6                               // 000000006064: D105002A 20000D94
	v_mul_f32_e64 v43, -v149, s6                               // 00000000606C: D105002B 20000D95
	v_mul_f32_e64 v44, -v150, s6                               // 000000006074: D105002C 20000D96
	v_mul_f32_e64 v45, -v151, s6                               // 00000000607C: D105002D 20000D97
	v_exp_f32_e32 v42, v42                                     // 000000006084: 7E54412A
	v_exp_f32_e32 v43, v43                                     // 000000006088: 7E56412B
	v_exp_f32_e32 v44, v44                                     // 00000000608C: 7E58412C
	v_exp_f32_e32 v45, v45                                     // 000000006090: 7E5A412D
	buffer_load_dwordx4 a[44:47], v49, s[12:15], 0 offen       // 000000006094: E05C1000 80832C31
	s_add_u32 s12, s78, s12                                    // 00000000609C: 800C0C4E
	s_addc_u32 s13, 0, s13                                     // 0000000060A0: 820D0D80
	v_add_f32_e64 v42, v42, 1.0                                // 0000000060A4: D101002A 0001E52A
	v_add_f32_e64 v43, v43, 1.0                                // 0000000060AC: D101002B 0001E52B
	v_add_f32_e64 v44, v44, 1.0                                // 0000000060B4: D101002C 0001E52C
	v_add_f32_e64 v45, v45, 1.0                                // 0000000060BC: D101002D 0001E52D
	v_rcp_f32_e32 v42, v42                                     // 0000000060C4: 7E54452A
	v_rcp_f32_e32 v43, v43                                     // 0000000060C8: 7E56452B
	v_rcp_f32_e32 v44, v44                                     // 0000000060CC: 7E58452C
	v_rcp_f32_e32 v45, v45                                     // 0000000060D0: 7E5A452D
	v_pk_mul_f32 v[148:149], v[148:149], v[42:43]              // 0000000060D4: D3B14094 18025594
	v_pk_mul_f32 v[150:151], v[150:151], v[44:45]              // 0000000060DC: D3B14096 18025996
	v_pk_mul_f32 v[148:149], v[148:149], v[84:85]              // 0000000060E4: D3B14094 1802A994
	v_pk_mul_f32 v[150:151], v[150:151], v[86:87]              // 0000000060EC: D3B14096 1802AD96
	s_waitcnt vmcnt(16)                                        // 0000000060F4: BF8C4F70
	buffer_load_dwordx4 a[48:51], v46, s[12:15], 0 offen       // 0000000060F8: E05C1000 8083302E
	v_mul_f32_e64 v42, -v152, s6                               // 000000006100: D105002A 20000D98
	v_mul_f32_e64 v43, -v153, s6                               // 000000006108: D105002B 20000D99
	v_mul_f32_e64 v44, -v154, s6                               // 000000006110: D105002C 20000D9A
	v_mul_f32_e64 v45, -v155, s6                               // 000000006118: D105002D 20000D9B
	v_exp_f32_e32 v42, v42                                     // 000000006120: 7E54412A
	v_exp_f32_e32 v43, v43                                     // 000000006124: 7E56412B
	v_exp_f32_e32 v44, v44                                     // 000000006128: 7E58412C
	v_exp_f32_e32 v45, v45                                     // 00000000612C: 7E5A412D
	buffer_load_dwordx4 a[52:55], v47, s[12:15], 0 offen       // 000000006130: E05C1000 8083342F
	v_add_f32_e64 v42, v42, 1.0                                // 000000006138: D101002A 0001E52A
	v_add_f32_e64 v43, v43, 1.0                                // 000000006140: D101002B 0001E52B
	v_add_f32_e64 v44, v44, 1.0                                // 000000006148: D101002C 0001E52C
	v_add_f32_e64 v45, v45, 1.0                                // 000000006150: D101002D 0001E52D
	v_rcp_f32_e32 v42, v42                                     // 000000006158: 7E54452A
	v_rcp_f32_e32 v43, v43                                     // 00000000615C: 7E56452B
	v_rcp_f32_e32 v44, v44                                     // 000000006160: 7E58452C
	v_rcp_f32_e32 v45, v45                                     // 000000006164: 7E5A452D
	v_pk_mul_f32 v[152:153], v[152:153], v[42:43]              // 000000006168: D3B14098 18025598
	v_pk_mul_f32 v[154:155], v[154:155], v[44:45]              // 000000006170: D3B1409A 1802599A
	v_pk_mul_f32 v[152:153], v[152:153], v[88:89]              // 000000006178: D3B14098 1802B198
	v_pk_mul_f32 v[154:155], v[154:155], v[90:91]              // 000000006180: D3B1409A 1802B59A
	buffer_load_dwordx4 a[56:59], v48, s[12:15], 0 offen       // 000000006188: E05C1000 80833830
	v_mul_f32_e64 v42, -v156, s6                               // 000000006190: D105002A 20000D9C
	v_mul_f32_e64 v43, -v157, s6                               // 000000006198: D105002B 20000D9D
	v_mul_f32_e64 v44, -v158, s6                               // 0000000061A0: D105002C 20000D9E
	v_mul_f32_e64 v45, -v159, s6                               // 0000000061A8: D105002D 20000D9F
	v_exp_f32_e32 v42, v42                                     // 0000000061B0: 7E54412A
	v_exp_f32_e32 v43, v43                                     // 0000000061B4: 7E56412B
	v_exp_f32_e32 v44, v44                                     // 0000000061B8: 7E58412C
	v_exp_f32_e32 v45, v45                                     // 0000000061BC: 7E5A412D
	buffer_load_dwordx4 a[60:63], v49, s[12:15], 0 offen       // 0000000061C0: E05C1000 80833C31
	s_add_u32 s12, s78, s12                                    // 0000000061C8: 800C0C4E
	s_addc_u32 s13, 0, s13                                     // 0000000061CC: 820D0D80
	v_add_f32_e64 v42, v42, 1.0                                // 0000000061D0: D101002A 0001E52A
	v_add_f32_e64 v43, v43, 1.0                                // 0000000061D8: D101002B 0001E52B
	v_add_f32_e64 v44, v44, 1.0                                // 0000000061E0: D101002C 0001E52C
	v_add_f32_e64 v45, v45, 1.0                                // 0000000061E8: D101002D 0001E52D
	v_rcp_f32_e32 v42, v42                                     // 0000000061F0: 7E54452A
	v_rcp_f32_e32 v43, v43                                     // 0000000061F4: 7E56452B
	v_rcp_f32_e32 v44, v44                                     // 0000000061F8: 7E58452C
	v_rcp_f32_e32 v45, v45                                     // 0000000061FC: 7E5A452D
	v_pk_mul_f32 v[156:157], v[156:157], v[42:43]              // 000000006200: D3B1409C 1802559C
	v_pk_mul_f32 v[158:159], v[158:159], v[44:45]              // 000000006208: D3B1409E 1802599E
	v_pk_mul_f32 v[156:157], v[156:157], v[92:93]              // 000000006210: D3B1409C 1802B99C
	v_pk_mul_f32 v[158:159], v[158:159], v[94:95]              // 000000006218: D3B1409E 1802BD9E
	s_waitcnt vmcnt(16)                                        // 000000006220: BF8C4F70
	buffer_load_dwordx4 a[64:67], v46, s[12:15], 0 offen       // 000000006224: E05C1000 8083402E
	v_mul_f32_e64 v42, -v160, s6                               // 00000000622C: D105002A 20000DA0
	v_mul_f32_e64 v43, -v161, s6                               // 000000006234: D105002B 20000DA1
	v_mul_f32_e64 v44, -v162, s6                               // 00000000623C: D105002C 20000DA2
	v_mul_f32_e64 v45, -v163, s6                               // 000000006244: D105002D 20000DA3
	v_exp_f32_e32 v42, v42                                     // 00000000624C: 7E54412A
	v_exp_f32_e32 v43, v43                                     // 000000006250: 7E56412B
	v_exp_f32_e32 v44, v44                                     // 000000006254: 7E58412C
	v_exp_f32_e32 v45, v45                                     // 000000006258: 7E5A412D
	buffer_load_dwordx4 a[68:71], v47, s[12:15], 0 offen       // 00000000625C: E05C1000 8083442F
	v_add_f32_e64 v42, v42, 1.0                                // 000000006264: D101002A 0001E52A
	v_add_f32_e64 v43, v43, 1.0                                // 00000000626C: D101002B 0001E52B
	v_add_f32_e64 v44, v44, 1.0                                // 000000006274: D101002C 0001E52C
	v_add_f32_e64 v45, v45, 1.0                                // 00000000627C: D101002D 0001E52D
	v_rcp_f32_e32 v42, v42                                     // 000000006284: 7E54452A
	v_rcp_f32_e32 v43, v43                                     // 000000006288: 7E56452B
	v_rcp_f32_e32 v44, v44                                     // 00000000628C: 7E58452C
	v_rcp_f32_e32 v45, v45                                     // 000000006290: 7E5A452D
	v_pk_mul_f32 v[160:161], v[160:161], v[42:43]              // 000000006294: D3B140A0 180255A0
	v_pk_mul_f32 v[162:163], v[162:163], v[44:45]              // 00000000629C: D3B140A2 180259A2
	v_pk_mul_f32 v[160:161], v[160:161], v[96:97]              // 0000000062A4: D3B140A0 1802C1A0
	v_pk_mul_f32 v[162:163], v[162:163], v[98:99]              // 0000000062AC: D3B140A2 1802C5A2
	buffer_load_dwordx4 a[72:75], v48, s[12:15], 0 offen       // 0000000062B4: E05C1000 80834830
	v_mul_f32_e64 v42, -v164, s6                               // 0000000062BC: D105002A 20000DA4
	v_mul_f32_e64 v43, -v165, s6                               // 0000000062C4: D105002B 20000DA5
	v_mul_f32_e64 v44, -v166, s6                               // 0000000062CC: D105002C 20000DA6
	v_mul_f32_e64 v45, -v167, s6                               // 0000000062D4: D105002D 20000DA7
	v_exp_f32_e32 v42, v42                                     // 0000000062DC: 7E54412A
	v_exp_f32_e32 v43, v43                                     // 0000000062E0: 7E56412B
	v_exp_f32_e32 v44, v44                                     // 0000000062E4: 7E58412C
	v_exp_f32_e32 v45, v45                                     // 0000000062E8: 7E5A412D
	buffer_load_dwordx4 a[76:79], v49, s[12:15], 0 offen       // 0000000062EC: E05C1000 80834C31
	v_add_f32_e64 v42, v42, 1.0                                // 0000000062F4: D101002A 0001E52A
	v_add_f32_e64 v43, v43, 1.0                                // 0000000062FC: D101002B 0001E52B
	v_add_f32_e64 v44, v44, 1.0                                // 000000006304: D101002C 0001E52C
	v_add_f32_e64 v45, v45, 1.0                                // 00000000630C: D101002D 0001E52D
	v_rcp_f32_e32 v42, v42                                     // 000000006314: 7E54452A
	v_rcp_f32_e32 v43, v43                                     // 000000006318: 7E56452B
	v_rcp_f32_e32 v44, v44                                     // 00000000631C: 7E58452C
	v_rcp_f32_e32 v45, v45                                     // 000000006320: 7E5A452D
	v_pk_mul_f32 v[164:165], v[164:165], v[42:43]              // 000000006324: D3B140A4 180255A4
	v_pk_mul_f32 v[166:167], v[166:167], v[44:45]              // 00000000632C: D3B140A6 180259A6
	v_pk_mul_f32 v[164:165], v[164:165], v[100:101]            // 000000006334: D3B140A4 1802C9A4
	v_pk_mul_f32 v[166:167], v[166:167], v[102:103]            // 00000000633C: D3B140A6 1802CDA6
	v_mul_f32_dpp v128, v18, v128 row_newbcast:0 row_mask:0xf bank_mask:0xf// 000000006344: 0B0100FA FF015012
	v_mul_f32_dpp v129, v18, v129 row_newbcast:1 row_mask:0xf bank_mask:0xf// 00000000634C: 0B0302FA FF015112
	v_mul_f32_dpp v130, v18, v130 row_newbcast:2 row_mask:0xf bank_mask:0xf// 000000006354: 0B0504FA FF015212
	v_mul_f32_dpp v131, v18, v131 row_newbcast:3 row_mask:0xf bank_mask:0xf// 00000000635C: 0B0706FA FF015312
	v_mul_f32_dpp v132, v18, v132 row_newbcast:0 row_mask:0xf bank_mask:0xf// 000000006364: 0B0908FA FF015012
	v_mul_f32_dpp v133, v18, v133 row_newbcast:1 row_mask:0xf bank_mask:0xf// 00000000636C: 0B0B0AFA FF015112
	v_mul_f32_dpp v134, v18, v134 row_newbcast:2 row_mask:0xf bank_mask:0xf// 000000006374: 0B0D0CFA FF015212
	v_mul_f32_dpp v135, v18, v135 row_newbcast:3 row_mask:0xf bank_mask:0xf// 00000000637C: 0B0F0EFA FF015312
	v_mul_f32_dpp v136, v18, v136 row_newbcast:4 row_mask:0xf bank_mask:0xf// 000000006384: 0B1110FA FF015412
	v_mul_f32_dpp v137, v18, v137 row_newbcast:5 row_mask:0xf bank_mask:0xf// 00000000638C: 0B1312FA FF015512
	v_mul_f32_dpp v138, v18, v138 row_newbcast:6 row_mask:0xf bank_mask:0xf// 000000006394: 0B1514FA FF015612
	v_mul_f32_dpp v139, v18, v139 row_newbcast:7 row_mask:0xf bank_mask:0xf// 00000000639C: 0B1716FA FF015712
	v_mul_f32_dpp v140, v18, v140 row_newbcast:4 row_mask:0xf bank_mask:0xf// 0000000063A4: 0B1918FA FF015412
	v_mul_f32_dpp v141, v18, v141 row_newbcast:5 row_mask:0xf bank_mask:0xf// 0000000063AC: 0B1B1AFA FF015512
	v_mul_f32_dpp v142, v18, v142 row_newbcast:6 row_mask:0xf bank_mask:0xf// 0000000063B4: 0B1D1CFA FF015612
	v_mul_f32_dpp v143, v18, v143 row_newbcast:7 row_mask:0xf bank_mask:0xf// 0000000063BC: 0B1F1EFA FF015712
	v_mul_f32_dpp v144, v18, v144 row_newbcast:8 row_mask:0xf bank_mask:0xf// 0000000063C4: 0B2120FA FF015812
	v_mul_f32_dpp v145, v18, v145 row_newbcast:9 row_mask:0xf bank_mask:0xf// 0000000063CC: 0B2322FA FF015912
	v_mul_f32_dpp v146, v18, v146 row_newbcast:10 row_mask:0xf bank_mask:0xf// 0000000063D4: 0B2524FA FF015A12
	v_mul_f32_dpp v147, v18, v147 row_newbcast:11 row_mask:0xf bank_mask:0xf// 0000000063DC: 0B2726FA FF015B12
	v_mul_f32_dpp v148, v18, v148 row_newbcast:8 row_mask:0xf bank_mask:0xf// 0000000063E4: 0B2928FA FF015812
	v_mul_f32_dpp v149, v18, v149 row_newbcast:9 row_mask:0xf bank_mask:0xf// 0000000063EC: 0B2B2AFA FF015912
	v_mul_f32_dpp v150, v18, v150 row_newbcast:10 row_mask:0xf bank_mask:0xf// 0000000063F4: 0B2D2CFA FF015A12
	v_mul_f32_dpp v151, v18, v151 row_newbcast:11 row_mask:0xf bank_mask:0xf// 0000000063FC: 0B2F2EFA FF015B12
	v_mul_f32_dpp v152, v18, v152 row_newbcast:12 row_mask:0xf bank_mask:0xf// 000000006404: 0B3130FA FF015C12
	v_mul_f32_dpp v153, v18, v153 row_newbcast:13 row_mask:0xf bank_mask:0xf// 00000000640C: 0B3332FA FF015D12
	v_mul_f32_dpp v154, v18, v154 row_newbcast:14 row_mask:0xf bank_mask:0xf// 000000006414: 0B3534FA FF015E12
	v_mul_f32_dpp v155, v18, v155 row_newbcast:15 row_mask:0xf bank_mask:0xf// 00000000641C: 0B3736FA FF015F12
	v_mul_f32_dpp v156, v18, v156 row_newbcast:12 row_mask:0xf bank_mask:0xf// 000000006424: 0B3938FA FF015C12
	v_mul_f32_dpp v157, v18, v157 row_newbcast:13 row_mask:0xf bank_mask:0xf// 00000000642C: 0B3B3AFA FF015D12
	v_mul_f32_dpp v158, v18, v158 row_newbcast:14 row_mask:0xf bank_mask:0xf// 000000006434: 0B3D3CFA FF015E12
	v_mul_f32_dpp v159, v18, v159 row_newbcast:15 row_mask:0xf bank_mask:0xf// 00000000643C: 0B3F3EFA FF015F12
	v_mul_f32_dpp v160, v19, v160 row_newbcast:0 row_mask:0xf bank_mask:0xf// 000000006444: 0B4140FA FF015013
	v_mul_f32_dpp v161, v19, v161 row_newbcast:1 row_mask:0xf bank_mask:0xf// 00000000644C: 0B4342FA FF015113
	v_mul_f32_dpp v162, v19, v162 row_newbcast:2 row_mask:0xf bank_mask:0xf// 000000006454: 0B4544FA FF015213
	v_mul_f32_dpp v163, v19, v163 row_newbcast:3 row_mask:0xf bank_mask:0xf// 00000000645C: 0B4746FA FF015313
	v_mul_f32_dpp v164, v19, v164 row_newbcast:0 row_mask:0xf bank_mask:0xf// 000000006464: 0B4948FA FF015013
	v_mul_f32_dpp v165, v19, v165 row_newbcast:1 row_mask:0xf bank_mask:0xf// 00000000646C: 0B4B4AFA FF015113
	v_mul_f32_dpp v166, v19, v166 row_newbcast:2 row_mask:0xf bank_mask:0xf// 000000006474: 0B4D4CFA FF015213
	v_mul_f32_dpp v167, v19, v167 row_newbcast:3 row_mask:0xf bank_mask:0xf// 00000000647C: 0B4F4EFA FF015313
	v_lshlrev_b32_e32 v42, 2, v0                               // 000000006484: 24540082
	s_mul_i32 s60, s82, s71                                    // 000000006488: 923C4752
	v_add_u32_e64 v80, v42, s60                                // 00000000648C: D1340050 0000792A
	v_mov_b32_e32 v81, 0                                       // 000000006494: 7EA20280
	s_mul_i32 s60, s83, s71                                    // 000000006498: 923C4753
	v_add_u32_e64 v82, v42, s60                                // 00000000649C: D1340052 0000792A
	v_mov_b32_e32 v83, 0                                       // 0000000064A4: 7EA60280
	s_mul_i32 s60, s84, s71                                    // 0000000064A8: 923C4754
	v_add_u32_e64 v84, v42, s60                                // 0000000064AC: D1340054 0000792A
	v_mov_b32_e32 v85, 0                                       // 0000000064B4: 7EAA0280
	s_mul_i32 s60, s85, s71                                    // 0000000064B8: 923C4755
	v_add_u32_e64 v86, v42, s60                                // 0000000064BC: D1340056 0000792A
	v_mov_b32_e32 v87, 0                                       // 0000000064C4: 7EAE0280
	s_mul_i32 s60, s86, s71                                    // 0000000064C8: 923C4756
	v_add_u32_e64 v88, v42, s60                                // 0000000064CC: D1340058 0000792A
	v_mov_b32_e32 v89, 0                                       // 0000000064D4: 7EB20280
	s_mul_i32 s60, s87, s71                                    // 0000000064D8: 923C4757
	v_add_u32_e64 v90, v42, s60                                // 0000000064DC: D134005A 0000792A
	v_mov_b32_e32 v91, 0                                       // 0000000064E4: 7EB60280
	s_mul_i32 s60, s88, s71                                    // 0000000064E8: 923C4758
	v_add_u32_e64 v92, v42, s60                                // 0000000064EC: D134005C 0000792A
	v_mov_b32_e32 v93, 0                                       // 0000000064F4: 7EBA0280
	s_mul_i32 s60, s89, s71                                    // 0000000064F8: 923C4759
	v_add_u32_e64 v94, v42, s60                                // 0000000064FC: D134005E 0000792A
	v_mov_b32_e32 v95, 0                                       // 000000006504: 7EBE0280
	buffer_load_dword v12, v5, s[16:19], 0 offen               // 000000006508: E0501000 80040C05
	v_mov_b32_e32 v22, 0x358637bd                              // 000000006510: 7E2C02FF 358637BD
	v_mov_b32_e32 v23, 0x358637bd                              // 000000006518: 7E2E02FF 358637BD
	v_max3_f32 v22, |v128|, |v129|, v22                        // 000000006520: D1D30316 045B0380
	v_max3_f32 v22, |v130|, |v131|, v22                        // 000000006528: D1D30316 045B0782
	v_max3_f32 v23, |v132|, |v133|, v23                        // 000000006530: D1D30317 045F0B84
	v_max3_f32 v23, |v134|, |v135|, v23                        // 000000006538: D1D30317 045F0F86
	v_max3_f32 v22, |v136|, |v137|, v22                        // 000000006540: D1D30316 045B1388
	v_max3_f32 v22, |v138|, |v139|, v22                        // 000000006548: D1D30316 045B178A
	v_max3_f32 v23, |v140|, |v141|, v23                        // 000000006550: D1D30317 045F1B8C
	v_max3_f32 v23, |v142|, |v143|, v23                        // 000000006558: D1D30317 045F1F8E
	v_max3_f32 v22, |v144|, |v145|, v22                        // 000000006560: D1D30316 045B2390
	v_max3_f32 v22, |v146|, |v147|, v22                        // 000000006568: D1D30316 045B2792
	v_max3_f32 v23, |v148|, |v149|, v23                        // 000000006570: D1D30317 045F2B94
	v_max3_f32 v23, |v150|, |v151|, v23                        // 000000006578: D1D30317 045F2F96
	v_max3_f32 v22, |v152|, |v153|, v22                        // 000000006580: D1D30316 045B3398
	v_max3_f32 v22, |v154|, |v155|, v22                        // 000000006588: D1D30316 045B379A
	v_max3_f32 v23, |v156|, |v157|, v23                        // 000000006590: D1D30317 045F3B9C
	v_max3_f32 v23, |v158|, |v159|, v23                        // 000000006598: D1D30317 045F3F9E
	v_max3_f32 v22, |v160|, |v161|, v22                        // 0000000065A0: D1D30316 045B43A0
	v_max3_f32 v22, |v162|, |v163|, v22                        // 0000000065A8: D1D30316 045B47A2
	v_max3_f32 v23, |v164|, |v165|, v23                        // 0000000065B0: D1D30317 045F4BA4
	v_max3_f32 v23, |v166|, |v167|, v23                        // 0000000065B8: D1D30317 045F4FA6
	v_lshlrev_b32_e32 v42, 3, v0                               // 0000000065C0: 24540083
	s_mul_i32 s60, 0x200, s5                                   // 0000000065C4: 923C05FF 00000200
	v_add_u32_e32 v42, s60, v42                                // 0000000065CC: 6854543C
	ds_write_b64 v42, v[22:23]                                 // 0000000065D0: D89A0000 0000162A
	s_waitcnt lgkmcnt(0)                                       // 0000000065D8: BF8CC07F
	s_barrier                                                  // 0000000065DC: BF8A0000
	v_and_b32_e32 v42, 15, v0                                  // 0000000065E0: 2654008F
	v_lshlrev_b32_e32 v42, 3, v42                              // 0000000065E4: 24545483
	ds_read_b64 v[96:97], v42                                  // 0000000065E8: D8EC0000 6000002A
	ds_read_b64 v[98:99], v42 offset:128                       // 0000000065F0: D8EC0080 6200002A
	ds_read_b64 v[100:101], v42 offset:256                     // 0000000065F8: D8EC0100 6400002A
	ds_read_b64 v[102:103], v42 offset:384                     // 000000006600: D8EC0180 6600002A
	ds_read_b64 v[104:105], v42 offset:512                     // 000000006608: D8EC0200 6800002A
	ds_read_b64 v[106:107], v42 offset:640                     // 000000006610: D8EC0280 6A00002A
	ds_read_b64 v[108:109], v42 offset:768                     // 000000006618: D8EC0300 6C00002A
	ds_read_b64 v[110:111], v42 offset:896                     // 000000006620: D8EC0380 6E00002A
	ds_read_b64 v[112:113], v42 offset:1024                    // 000000006628: D8EC0400 7000002A
	ds_read_b64 v[114:115], v42 offset:1152                    // 000000006630: D8EC0480 7200002A
	ds_read_b64 v[116:117], v42 offset:1280                    // 000000006638: D8EC0500 7400002A
	ds_read_b64 v[118:119], v42 offset:1408                    // 000000006640: D8EC0580 7600002A
	ds_read_b64 v[120:121], v42 offset:1536                    // 000000006648: D8EC0600 7800002A
	ds_read_b64 v[122:123], v42 offset:1664                    // 000000006650: D8EC0680 7A00002A
	ds_read_b64 v[124:125], v42 offset:1792                    // 000000006658: D8EC0700 7C00002A
	ds_read_b64 v[126:127], v42 offset:1920                    // 000000006660: D8EC0780 7E00002A
	s_waitcnt lgkmcnt(0)                                       // 000000006668: BF8CC07F
	v_max3_f32 v22, |v96|, |v98|, v22                          // 00000000666C: D1D30316 045AC560
	v_max3_f32 v23, |v97|, |v99|, v23                          // 000000006674: D1D30317 045EC761
	v_max3_f32 v22, |v100|, |v102|, v22                        // 00000000667C: D1D30316 045ACD64
	v_max3_f32 v23, |v101|, |v103|, v23                        // 000000006684: D1D30317 045ECF65
	v_max3_f32 v22, |v104|, |v106|, v22                        // 00000000668C: D1D30316 045AD568
	v_max3_f32 v23, |v105|, |v107|, v23                        // 000000006694: D1D30317 045ED769
	v_max3_f32 v22, |v108|, |v110|, v22                        // 00000000669C: D1D30316 045ADD6C
	v_max3_f32 v23, |v109|, |v111|, v23                        // 0000000066A4: D1D30317 045EDF6D
	v_max3_f32 v22, |v112|, |v114|, v22                        // 0000000066AC: D1D30316 045AE570
	v_max3_f32 v23, |v113|, |v115|, v23                        // 0000000066B4: D1D30317 045EE771
	v_max3_f32 v22, |v116|, |v118|, v22                        // 0000000066BC: D1D30316 045AED74
	v_max3_f32 v23, |v117|, |v119|, v23                        // 0000000066C4: D1D30317 045EEF75
	v_max3_f32 v22, |v120|, |v122|, v22                        // 0000000066CC: D1D30316 045AF578
	v_max3_f32 v23, |v121|, |v123|, v23                        // 0000000066D4: D1D30317 045EF779
	v_max3_f32 v22, |v124|, |v126|, v22                        // 0000000066DC: D1D30316 045AFD7C
	v_max3_f32 v23, |v125|, |v127|, v23                        // 0000000066E4: D1D30317 045EFF7D
	v_rcp_f32_e32 v22, v22                                     // 0000000066EC: 7E2C4516
	v_rcp_f32_e32 v23, v23                                     // 0000000066F0: 7E2E4517
	v_mov_b32_e32 v42, 0x43700000                              // 0000000066F4: 7E5402FF 43700000
	v_mul_f32_e32 v22, v42, v22                                // 0000000066FC: 0A2C2D2A
	v_mul_f32_e32 v23, v42, v23                                // 000000006700: 0A2E2F2A
	v_mul_f32_e32 v128, v22, v128                              // 000000006704: 0B010116
	v_mul_f32_e32 v129, v22, v129                              // 000000006708: 0B030316
	v_mul_f32_e32 v130, v22, v130                              // 00000000670C: 0B050516
	v_mul_f32_e32 v131, v22, v131                              // 000000006710: 0B070716
	v_cvt_pk_fp8_f32 v128, v128, v129                          // 000000006714: D2A20080 00030380
	v_cvt_pk_fp8_f32 v128, v130, v131 op_sel:[0,0,1]           // 00000000671C: D2A24080 00030782
	v_mul_f32_e32 v132, v23, v132                              // 000000006724: 0B090917
	v_mul_f32_e32 v133, v23, v133                              // 000000006728: 0B0B0B17
	v_mul_f32_e32 v134, v23, v134                              // 00000000672C: 0B0D0D17
	v_mul_f32_e32 v135, v23, v135                              // 000000006730: 0B0F0F17
	v_cvt_pk_fp8_f32 v129, v132, v133                          // 000000006734: D2A20081 00030B84
	v_cvt_pk_fp8_f32 v129, v134, v135 op_sel:[0,0,1]           // 00000000673C: D2A24081 00030F86
	v_mul_f32_e32 v136, v22, v136                              // 000000006744: 0B111116
	v_mul_f32_e32 v137, v22, v137                              // 000000006748: 0B131316
	v_mul_f32_e32 v138, v22, v138                              // 00000000674C: 0B151516
	v_mul_f32_e32 v139, v22, v139                              // 000000006750: 0B171716
	v_cvt_pk_fp8_f32 v130, v136, v137                          // 000000006754: D2A20082 00031388
	v_cvt_pk_fp8_f32 v130, v138, v139 op_sel:[0,0,1]           // 00000000675C: D2A24082 0003178A
	v_mul_f32_e32 v140, v23, v140                              // 000000006764: 0B191917
	v_mul_f32_e32 v141, v23, v141                              // 000000006768: 0B1B1B17
	v_mul_f32_e32 v142, v23, v142                              // 00000000676C: 0B1D1D17
	v_mul_f32_e32 v143, v23, v143                              // 000000006770: 0B1F1F17
	v_cvt_pk_fp8_f32 v131, v140, v141                          // 000000006774: D2A20083 00031B8C
	v_cvt_pk_fp8_f32 v131, v142, v143 op_sel:[0,0,1]           // 00000000677C: D2A24083 00031F8E
	v_mul_f32_e32 v144, v22, v144                              // 000000006784: 0B212116
	v_mul_f32_e32 v145, v22, v145                              // 000000006788: 0B232316
	v_mul_f32_e32 v146, v22, v146                              // 00000000678C: 0B252516
	v_mul_f32_e32 v147, v22, v147                              // 000000006790: 0B272716
	v_cvt_pk_fp8_f32 v132, v144, v145                          // 000000006794: D2A20084 00032390
	v_cvt_pk_fp8_f32 v132, v146, v147 op_sel:[0,0,1]           // 00000000679C: D2A24084 00032792
	v_mul_f32_e32 v148, v23, v148                              // 0000000067A4: 0B292917
	v_mul_f32_e32 v149, v23, v149                              // 0000000067A8: 0B2B2B17
	v_mul_f32_e32 v150, v23, v150                              // 0000000067AC: 0B2D2D17
	v_mul_f32_e32 v151, v23, v151                              // 0000000067B0: 0B2F2F17
	v_cvt_pk_fp8_f32 v133, v148, v149                          // 0000000067B4: D2A20085 00032B94
	v_cvt_pk_fp8_f32 v133, v150, v151 op_sel:[0,0,1]           // 0000000067BC: D2A24085 00032F96
	v_mul_f32_e32 v152, v22, v152                              // 0000000067C4: 0B313116
	v_mul_f32_e32 v153, v22, v153                              // 0000000067C8: 0B333316
	v_mul_f32_e32 v154, v22, v154                              // 0000000067CC: 0B353516
	v_mul_f32_e32 v155, v22, v155                              // 0000000067D0: 0B373716
	v_cvt_pk_fp8_f32 v134, v152, v153                          // 0000000067D4: D2A20086 00033398
	v_cvt_pk_fp8_f32 v134, v154, v155 op_sel:[0,0,1]           // 0000000067DC: D2A24086 0003379A
	v_mul_f32_e32 v156, v23, v156                              // 0000000067E4: 0B393917
	v_mul_f32_e32 v157, v23, v157                              // 0000000067E8: 0B3B3B17
	v_mul_f32_e32 v158, v23, v158                              // 0000000067EC: 0B3D3D17
	v_mul_f32_e32 v159, v23, v159                              // 0000000067F0: 0B3F3F17
	v_cvt_pk_fp8_f32 v135, v156, v157                          // 0000000067F4: D2A20087 00033B9C
	v_cvt_pk_fp8_f32 v135, v158, v159 op_sel:[0,0,1]           // 0000000067FC: D2A24087 00033F9E
	v_mul_f32_e32 v160, v22, v160                              // 000000006804: 0B414116
	v_mul_f32_e32 v161, v22, v161                              // 000000006808: 0B434316
	v_mul_f32_e32 v162, v22, v162                              // 00000000680C: 0B454516
	v_mul_f32_e32 v163, v22, v163                              // 000000006810: 0B474716
	v_cvt_pk_fp8_f32 v136, v160, v161                          // 000000006814: D2A20088 000343A0
	v_cvt_pk_fp8_f32 v136, v162, v163 op_sel:[0,0,1]           // 00000000681C: D2A24088 000347A2
	v_mul_f32_e32 v164, v23, v164                              // 000000006824: 0B494917
	v_mul_f32_e32 v165, v23, v165                              // 000000006828: 0B4B4B17
	v_mul_f32_e32 v166, v23, v166                              // 00000000682C: 0B4D4D17
	v_mul_f32_e32 v167, v23, v167                              // 000000006830: 0B4F4F17
	v_cvt_pk_fp8_f32 v137, v164, v165                          // 000000006834: D2A20089 00034BA4
	v_cvt_pk_fp8_f32 v137, v166, v167 op_sel:[0,0,1]           // 00000000683C: D2A24089 00034FA6
	v_rcp_f32_e32 v24, v22                                     // 000000006844: 7E304516
	v_rcp_f32_e32 v25, v23                                     // 000000006848: 7E324517
	v_lshrrev_b32_e32 v42, 5, v0                               // 00000000684C: 20540085
	v_lshlrev_b32_e32 v43, 5, v42                              // 000000006850: 24565485
	v_and_b32_e32 v42, 31, v0                                  // 000000006854: 2654009F
	v_lshrrev_b32_e32 v44, 4, v42                              // 000000006858: 20585484
	v_add_u32_e32 v43, v44, v43                                // 00000000685C: 6856572C
	v_and_b32_e32 v42, 15, v0                                  // 000000006860: 2654008F
	v_lshlrev_b32_e32 v42, 1, v42                              // 000000006864: 24545481
	v_add_u32_e32 v43, v42, v43                                // 000000006868: 6856572A
	v_lshlrev_b32_e32 v42, 2, v43                              // 00000000686C: 24545682
	s_mul_i32 s60, 0x100, s5                                   // 000000006870: 923C05FF 00000100
	v_add_u32_e64 v42, v42, s60                                // 000000006878: D134002A 0000792A
	ds_write_b32 v42, v128 offset:2048                         // 000000006880: D81A0800 0000802A
	ds_write_b32 v42, v129 offset:7168                         // 000000006888: D81A1C00 0000812A
	ds_write_b32 v42, v130 offset:3072                         // 000000006890: D81A0C00 0000822A
	ds_write_b32 v42, v131 offset:8192                         // 000000006898: D81A2000 0000832A
	ds_write_b32 v42, v132 offset:4096                         // 0000000068A0: D81A1000 0000842A
	ds_write_b32 v42, v133 offset:9216                         // 0000000068A8: D81A2400 0000852A
	ds_write_b32 v42, v134 offset:5120                         // 0000000068B0: D81A1400 0000862A
	ds_write_b32 v42, v135 offset:10240                        // 0000000068B8: D81A2800 0000872A
	ds_write_b32 v42, v136 offset:6144                         // 0000000068C0: D81A1800 0000882A
	ds_write_b32 v42, v137 offset:11264                        // 0000000068C8: D81A2C00 0000892A
	s_waitcnt lgkmcnt(0)                                       // 0000000068D0: BF8CC07F
	s_barrier                                                  // 0000000068D4: BF8A0000
	v_lshrrev_b32_e32 v42, 4, v0                               // 0000000068D8: 20540084
	v_lshlrev_b32_e32 v43, 6, v42                              // 0000000068DC: 24565486
	v_and_b32_e32 v42, 15, v0                                  // 0000000068E0: 2654008F
	v_lshlrev_b32_e32 v42, 1, v42                              // 0000000068E4: 24545481
	v_add_u32_e32 v43, v42, v43                                // 0000000068E8: 6856572A
	v_lshlrev_b32_e32 v42, 2, v43                              // 0000000068EC: 24545682
	ds_read_b64 v[128:129], v42 offset:2048                    // 0000000068F0: D8EC0800 8000002A
	ds_read_b64 v[130:131], v42 offset:2176                    // 0000000068F8: D8EC0880 8200002A
	ds_read_b64 v[132:133], v42 offset:3072                    // 000000006900: D8EC0C00 8400002A
	ds_read_b64 v[134:135], v42 offset:3200                    // 000000006908: D8EC0C80 8600002A
	ds_read_b64 v[136:137], v42 offset:4096                    // 000000006910: D8EC1000 8800002A
	ds_read_b64 v[138:139], v42 offset:4224                    // 000000006918: D8EC1080 8A00002A
	ds_read_b64 v[140:141], v42 offset:5120                    // 000000006920: D8EC1400 8C00002A
	ds_read_b64 v[142:143], v42 offset:5248                    // 000000006928: D8EC1480 8E00002A
	ds_read_b64 v[144:145], v42 offset:6144                    // 000000006930: D8EC1800 9000002A
	ds_read_b64 v[146:147], v42 offset:6272                    // 000000006938: D8EC1880 9200002A
	ds_read_b64 v[148:149], v42 offset:7168                    // 000000006940: D8EC1C00 9400002A
	ds_read_b64 v[150:151], v42 offset:7296                    // 000000006948: D8EC1C80 9600002A
	ds_read_b64 v[152:153], v42 offset:8192                    // 000000006950: D8EC2000 9800002A
	ds_read_b64 v[154:155], v42 offset:8320                    // 000000006958: D8EC2080 9A00002A
	ds_read_b64 v[156:157], v42 offset:9216                    // 000000006960: D8EC2400 9C00002A
	ds_read_b64 v[158:159], v42 offset:9344                    // 000000006968: D8EC2480 9E00002A
	ds_read_b64 v[160:161], v42 offset:10240                   // 000000006970: D8EC2800 A000002A
	ds_read_b64 v[162:163], v42 offset:10368                   // 000000006978: D8EC2880 A200002A
	ds_read_b64 v[164:165], v42 offset:11264                   // 000000006980: D8EC2C00 A400002A
	ds_read_b64 v[166:167], v42 offset:11392                   // 000000006988: D8EC2C80 A600002A
	s_add_u32 s12, s56, s12                                    // 000000006990: 800C0C38
	s_addc_u32 s13, 0, s13                                     // 000000006994: 820D0D80
	s_add_u32 s16, s79, s16                                    // 000000006998: 8010104F
	s_addc_u32 s17, 0, s17                                     // 00000000699C: 82111180
	s_mov_b32 s80, 0                                           // 0000000069A0: BED00080
	s_waitcnt vmcnt(0) expcnt(0) lgkmcnt(0)                    // 0000000069A4: BF8C0000

00000000000069a8 <label_0FAA>:
	s_waitcnt vmcnt(33)                                        // 0000000069A8: BF8C8F71
	s_barrier                                                  // 0000000069AC: BF8A0000
	v_mfma_f32_16x16x32_fp8_fp8 v[168:171], a[0:1], v[128:129], 0// 0000000069B0: D3F300A8 0A030100
	v_mfma_f32_16x16x32_fp8_fp8 v[168:171], a[2:3], v[130:131], v[168:171]// 0000000069B8: D3F300A8 0EA30502
	buffer_load_dwordx4 a[80:83], v46, s[12:15], 0 offen       // 0000000069C0: E05C1000 8083502E
	v_mfma_f32_16x16x32_fp8_fp8 v[172:175], a[0:1], v[148:149], 0// 0000000069C8: D3F300AC 0A032900
	v_mfma_f32_16x16x32_fp8_fp8 v[172:175], a[2:3], v[150:151], v[172:175]// 0000000069D0: D3F300AC 0EB32D02
	v_mfma_f32_16x16x32_fp8_fp8 v[176:179], a[4:5], v[128:129], 0// 0000000069D8: D3F300B0 0A030104
	v_mfma_f32_16x16x32_fp8_fp8 v[176:179], a[6:7], v[130:131], v[176:179]// 0000000069E0: D3F300B0 0EC30506
	buffer_load_dwordx4 a[84:87], v47, s[12:15], 0 offen       // 0000000069E8: E05C1000 8083542F
	v_mfma_f32_16x16x32_fp8_fp8 v[180:183], a[4:5], v[148:149], 0// 0000000069F0: D3F300B4 0A032904
	v_mfma_f32_16x16x32_fp8_fp8 v[180:183], a[6:7], v[150:151], v[180:183]// 0000000069F8: D3F300B4 0ED32D06
	v_mfma_f32_16x16x32_fp8_fp8 v[184:187], a[8:9], v[128:129], 0// 000000006A00: D3F300B8 0A030108
	v_mfma_f32_16x16x32_fp8_fp8 v[184:187], a[10:11], v[130:131], v[184:187]// 000000006A08: D3F300B8 0EE3050A
	buffer_load_dwordx4 a[88:91], v48, s[12:15], 0 offen       // 000000006A10: E05C1000 80835830
	v_mfma_f32_16x16x32_fp8_fp8 v[188:191], a[8:9], v[148:149], 0// 000000006A18: D3F300BC 0A032908
	v_mfma_f32_16x16x32_fp8_fp8 v[188:191], a[10:11], v[150:151], v[188:191]// 000000006A20: D3F300BC 0EF32D0A
	v_mfma_f32_16x16x32_fp8_fp8 v[192:195], a[12:13], v[128:129], 0// 000000006A28: D3F300C0 0A03010C
	v_mfma_f32_16x16x32_fp8_fp8 v[192:195], a[14:15], v[130:131], v[192:195]// 000000006A30: D3F300C0 0F03050E
	buffer_load_dwordx4 a[92:95], v49, s[12:15], 0 offen       // 000000006A38: E05C1000 80835C31
	s_add_u32 s12, s78, s12                                    // 000000006A40: 800C0C4E
	s_addc_u32 s13, 0, s13                                     // 000000006A44: 820D0D80
	v_mfma_f32_16x16x32_fp8_fp8 v[196:199], a[12:13], v[148:149], 0// 000000006A48: D3F300C4 0A03290C
	v_mfma_f32_16x16x32_fp8_fp8 v[196:199], a[14:15], v[150:151], v[196:199]// 000000006A50: D3F300C4 0F132D0E
	s_waitcnt vmcnt(33)                                        // 000000006A58: BF8C8F71
	v_mfma_f32_16x16x32_fp8_fp8 v[168:171], a[16:17], v[132:133], v[168:171]// 000000006A5C: D3F300A8 0EA30910
	v_mfma_f32_16x16x32_fp8_fp8 v[168:171], a[18:19], v[134:135], v[168:171]// 000000006A64: D3F300A8 0EA30D12
	buffer_load_dwordx4 a[96:99], v46, s[12:15], 0 offen       // 000000006A6C: E05C1000 8083602E
	v_mfma_f32_16x16x32_fp8_fp8 v[172:175], a[16:17], v[152:153], v[172:175]// 000000006A74: D3F300AC 0EB33110
	v_mfma_f32_16x16x32_fp8_fp8 v[172:175], a[18:19], v[154:155], v[172:175]// 000000006A7C: D3F300AC 0EB33512
	v_mfma_f32_16x16x32_fp8_fp8 v[176:179], a[20:21], v[132:133], v[176:179]// 000000006A84: D3F300B0 0EC30914
	v_mfma_f32_16x16x32_fp8_fp8 v[176:179], a[22:23], v[134:135], v[176:179]// 000000006A8C: D3F300B0 0EC30D16
	buffer_load_dwordx4 a[100:103], v47, s[12:15], 0 offen     // 000000006A94: E05C1000 8083642F
	v_mfma_f32_16x16x32_fp8_fp8 v[180:183], a[20:21], v[152:153], v[180:183]// 000000006A9C: D3F300B4 0ED33114
	v_mfma_f32_16x16x32_fp8_fp8 v[180:183], a[22:23], v[154:155], v[180:183]// 000000006AA4: D3F300B4 0ED33516
	v_mfma_f32_16x16x32_fp8_fp8 v[184:187], a[24:25], v[132:133], v[184:187]// 000000006AAC: D3F300B8 0EE30918
	v_mfma_f32_16x16x32_fp8_fp8 v[184:187], a[26:27], v[134:135], v[184:187]// 000000006AB4: D3F300B8 0EE30D1A
	buffer_load_dwordx4 a[104:107], v48, s[12:15], 0 offen     // 000000006ABC: E05C1000 80836830
	v_mfma_f32_16x16x32_fp8_fp8 v[188:191], a[24:25], v[152:153], v[188:191]// 000000006AC4: D3F300BC 0EF33118
	v_mfma_f32_16x16x32_fp8_fp8 v[188:191], a[26:27], v[154:155], v[188:191]// 000000006ACC: D3F300BC 0EF3351A
	v_mfma_f32_16x16x32_fp8_fp8 v[192:195], a[28:29], v[132:133], v[192:195]// 000000006AD4: D3F300C0 0F03091C
	v_mfma_f32_16x16x32_fp8_fp8 v[192:195], a[30:31], v[134:135], v[192:195]// 000000006ADC: D3F300C0 0F030D1E
	buffer_load_dwordx4 a[108:111], v49, s[12:15], 0 offen     // 000000006AE4: E05C1000 80836C31
	s_add_u32 s12, s78, s12                                    // 000000006AEC: 800C0C4E
	s_addc_u32 s13, 0, s13                                     // 000000006AF0: 820D0D80
	v_mfma_f32_16x16x32_fp8_fp8 v[196:199], a[28:29], v[152:153], v[196:199]// 000000006AF4: D3F300C4 0F13311C
	v_mfma_f32_16x16x32_fp8_fp8 v[196:199], a[30:31], v[154:155], v[196:199]// 000000006AFC: D3F300C4 0F13351E
	s_waitcnt vmcnt(33)                                        // 000000006B04: BF8C8F71
	v_mfma_f32_16x16x32_fp8_fp8 v[168:171], a[32:33], v[136:137], v[168:171]// 000000006B08: D3F300A8 0EA31120
	v_mfma_f32_16x16x32_fp8_fp8 v[168:171], a[34:35], v[138:139], v[168:171]// 000000006B10: D3F300A8 0EA31522
	buffer_load_dwordx4 a[112:115], v46, s[12:15], 0 offen     // 000000006B18: E05C1000 8083702E
	v_mfma_f32_16x16x32_fp8_fp8 v[172:175], a[32:33], v[156:157], v[172:175]// 000000006B20: D3F300AC 0EB33920
	v_mfma_f32_16x16x32_fp8_fp8 v[172:175], a[34:35], v[158:159], v[172:175]// 000000006B28: D3F300AC 0EB33D22
	v_mfma_f32_16x16x32_fp8_fp8 v[176:179], a[36:37], v[136:137], v[176:179]// 000000006B30: D3F300B0 0EC31124
	v_mfma_f32_16x16x32_fp8_fp8 v[176:179], a[38:39], v[138:139], v[176:179]// 000000006B38: D3F300B0 0EC31526
	buffer_load_dwordx4 a[116:119], v47, s[12:15], 0 offen     // 000000006B40: E05C1000 8083742F
	v_mfma_f32_16x16x32_fp8_fp8 v[180:183], a[36:37], v[156:157], v[180:183]// 000000006B48: D3F300B4 0ED33924
	v_mfma_f32_16x16x32_fp8_fp8 v[180:183], a[38:39], v[158:159], v[180:183]// 000000006B50: D3F300B4 0ED33D26
	v_mfma_f32_16x16x32_fp8_fp8 v[184:187], a[40:41], v[136:137], v[184:187]// 000000006B58: D3F300B8 0EE31128
	v_mfma_f32_16x16x32_fp8_fp8 v[184:187], a[42:43], v[138:139], v[184:187]// 000000006B60: D3F300B8 0EE3152A
	buffer_load_dwordx4 a[120:123], v48, s[12:15], 0 offen     // 000000006B68: E05C1000 80837830
	v_mfma_f32_16x16x32_fp8_fp8 v[188:191], a[40:41], v[156:157], v[188:191]// 000000006B70: D3F300BC 0EF33928
	v_mfma_f32_16x16x32_fp8_fp8 v[188:191], a[42:43], v[158:159], v[188:191]// 000000006B78: D3F300BC 0EF33D2A
	v_mfma_f32_16x16x32_fp8_fp8 v[192:195], a[44:45], v[136:137], v[192:195]// 000000006B80: D3F300C0 0F03112C
	v_mfma_f32_16x16x32_fp8_fp8 v[192:195], a[46:47], v[138:139], v[192:195]// 000000006B88: D3F300C0 0F03152E
	buffer_load_dwordx4 a[124:127], v49, s[12:15], 0 offen     // 000000006B90: E05C1000 80837C31
	s_add_u32 s12, s78, s12                                    // 000000006B98: 800C0C4E
	s_addc_u32 s13, 0, s13                                     // 000000006B9C: 820D0D80
	v_mfma_f32_16x16x32_fp8_fp8 v[196:199], a[44:45], v[156:157], v[196:199]// 000000006BA0: D3F300C4 0F13392C
	v_mfma_f32_16x16x32_fp8_fp8 v[196:199], a[46:47], v[158:159], v[196:199]// 000000006BA8: D3F300C4 0F133D2E
	s_waitcnt vmcnt(33)                                        // 000000006BB0: BF8C8F71
	v_mfma_f32_16x16x32_fp8_fp8 v[168:171], a[48:49], v[140:141], v[168:171]// 000000006BB4: D3F300A8 0EA31930
	v_mfma_f32_16x16x32_fp8_fp8 v[168:171], a[50:51], v[142:143], v[168:171]// 000000006BBC: D3F300A8 0EA31D32
	buffer_load_dwordx4 a[128:131], v46, s[12:15], 0 offen     // 000000006BC4: E05C1000 8083802E
	v_mfma_f32_16x16x32_fp8_fp8 v[172:175], a[48:49], v[160:161], v[172:175]// 000000006BCC: D3F300AC 0EB34130
	v_mfma_f32_16x16x32_fp8_fp8 v[172:175], a[50:51], v[162:163], v[172:175]// 000000006BD4: D3F300AC 0EB34532
	v_mfma_f32_16x16x32_fp8_fp8 v[176:179], a[52:53], v[140:141], v[176:179]// 000000006BDC: D3F300B0 0EC31934
	v_mfma_f32_16x16x32_fp8_fp8 v[176:179], a[54:55], v[142:143], v[176:179]// 000000006BE4: D3F300B0 0EC31D36
	buffer_load_dwordx4 a[132:135], v47, s[12:15], 0 offen     // 000000006BEC: E05C1000 8083842F
	v_mfma_f32_16x16x32_fp8_fp8 v[180:183], a[52:53], v[160:161], v[180:183]// 000000006BF4: D3F300B4 0ED34134
	v_mfma_f32_16x16x32_fp8_fp8 v[180:183], a[54:55], v[162:163], v[180:183]// 000000006BFC: D3F300B4 0ED34536
	v_mfma_f32_16x16x32_fp8_fp8 v[184:187], a[56:57], v[140:141], v[184:187]// 000000006C04: D3F300B8 0EE31938
	v_mfma_f32_16x16x32_fp8_fp8 v[184:187], a[58:59], v[142:143], v[184:187]// 000000006C0C: D3F300B8 0EE31D3A
	buffer_load_dwordx4 a[136:139], v48, s[12:15], 0 offen     // 000000006C14: E05C1000 80838830
	v_mfma_f32_16x16x32_fp8_fp8 v[188:191], a[56:57], v[160:161], v[188:191]// 000000006C1C: D3F300BC 0EF34138
	v_mfma_f32_16x16x32_fp8_fp8 v[188:191], a[58:59], v[162:163], v[188:191]// 000000006C24: D3F300BC 0EF3453A
	v_mfma_f32_16x16x32_fp8_fp8 v[192:195], a[60:61], v[140:141], v[192:195]// 000000006C2C: D3F300C0 0F03193C
	v_mfma_f32_16x16x32_fp8_fp8 v[192:195], a[62:63], v[142:143], v[192:195]// 000000006C34: D3F300C0 0F031D3E
	buffer_load_dwordx4 a[140:143], v49, s[12:15], 0 offen     // 000000006C3C: E05C1000 80838C31
	s_add_u32 s12, s78, s12                                    // 000000006C44: 800C0C4E
	s_addc_u32 s13, 0, s13                                     // 000000006C48: 820D0D80
	v_mfma_f32_16x16x32_fp8_fp8 v[196:199], a[60:61], v[160:161], v[196:199]// 000000006C4C: D3F300C4 0F13413C
	v_mfma_f32_16x16x32_fp8_fp8 v[196:199], a[62:63], v[162:163], v[196:199]// 000000006C54: D3F300C4 0F13453E
	s_waitcnt vmcnt(32)                                        // 000000006C5C: BF8C8F70
	v_mfma_f32_16x16x32_fp8_fp8 v[168:171], a[64:65], v[144:145], v[168:171]// 000000006C60: D3F300A8 0EA32140
	v_mfma_f32_16x16x32_fp8_fp8 v[168:171], a[66:67], v[146:147], v[168:171]// 000000006C68: D3F300A8 0EA32542
	buffer_load_dwordx4 a[144:147], v46, s[12:15], 0 offen     // 000000006C70: E05C1000 8083902E
	v_mfma_f32_16x16x32_fp8_fp8 v[172:175], a[64:65], v[164:165], v[172:175]// 000000006C78: D3F300AC 0EB34940
	v_mfma_f32_16x16x32_fp8_fp8 v[172:175], a[66:67], v[166:167], v[172:175]// 000000006C80: D3F300AC 0EB34D42
	buffer_load_dword v13, v5, s[16:19], 0 offen               // 000000006C88: E0501000 80040D05
	v_mfma_f32_16x16x32_fp8_fp8 v[176:179], a[68:69], v[144:145], v[176:179]// 000000006C90: D3F300B0 0EC32144
	v_mfma_f32_16x16x32_fp8_fp8 v[176:179], a[70:71], v[146:147], v[176:179]// 000000006C98: D3F300B0 0EC32546
	buffer_load_dwordx4 a[148:151], v47, s[12:15], 0 offen     // 000000006CA0: E05C1000 8083942F
	v_mfma_f32_16x16x32_fp8_fp8 v[180:183], a[68:69], v[164:165], v[180:183]// 000000006CA8: D3F300B4 0ED34944
	v_mfma_f32_16x16x32_fp8_fp8 v[180:183], a[70:71], v[166:167], v[180:183]// 000000006CB0: D3F300B4 0ED34D46
	v_mfma_f32_16x16x32_fp8_fp8 v[184:187], a[72:73], v[144:145], v[184:187]// 000000006CB8: D3F300B8 0EE32148
	v_mfma_f32_16x16x32_fp8_fp8 v[184:187], a[74:75], v[146:147], v[184:187]// 000000006CC0: D3F300B8 0EE3254A
	buffer_load_dwordx4 a[152:155], v48, s[12:15], 0 offen     // 000000006CC8: E05C1000 80839830
	v_mfma_f32_16x16x32_fp8_fp8 v[188:191], a[72:73], v[164:165], v[188:191]// 000000006CD0: D3F300BC 0EF34948
	v_mfma_f32_16x16x32_fp8_fp8 v[188:191], a[74:75], v[166:167], v[188:191]// 000000006CD8: D3F300BC 0EF34D4A
	v_mfma_f32_16x16x32_fp8_fp8 v[192:195], a[76:77], v[144:145], v[192:195]// 000000006CE0: D3F300C0 0F03214C
	v_mfma_f32_16x16x32_fp8_fp8 v[192:195], a[78:79], v[146:147], v[192:195]// 000000006CE8: D3F300C0 0F03254E
	buffer_load_dwordx4 a[156:159], v49, s[12:15], 0 offen     // 000000006CF0: E05C1000 80839C31
	v_mfma_f32_16x16x32_fp8_fp8 v[196:199], a[76:77], v[164:165], v[196:199]// 000000006CF8: D3F300C4 0F13494C
	v_mfma_f32_16x16x32_fp8_fp8 v[196:199], a[78:79], v[166:167], v[196:199]// 000000006D00: D3F300C4 0F134D4E
	s_add_u32 s60, 0x200, s80                                  // 000000006D08: 803C50FF 00000200
	s_cmp_lt_u32 s60, s81                                      // 000000006D10: BF0A513C
	s_cselect_b32 s56, s56, 0                                  // 000000006D14: 85388038
	s_cselect_b32 s78, s78, 0                                  // 000000006D18: 854E804E
	s_cselect_b32 s79, s79, 0                                  // 000000006D1C: 854F804F
	s_add_u32 s12, s56, s12                                    // 000000006D20: 800C0C38
	s_addc_u32 s13, 0, s13                                     // 000000006D24: 820D0D80
	s_add_u32 s16, s79, s16                                    // 000000006D28: 8010104F
	s_addc_u32 s17, 0, s17                                     // 000000006D2C: 82111180
	v_mov_b32_e32 v42, v24                                     // 000000006D30: 7E540318
	v_mov_b32_e32 v44, v20                                     // 000000006D34: 7E580314
	v_mov_b32_e32 v43, v42                                     // 000000006D38: 7E56032A
	v_mov_b32_e32 v45, v44                                     // 000000006D3C: 7E5A032C
	v_pk_mul_f32 v[168:169], v[42:43], v[168:169]              // 000000006D40: D3B140A8 1803512A
	v_pk_mul_f32 v[170:171], v[42:43], v[170:171]              // 000000006D48: D3B140AA 1803552A
	v_mul_f32_dpp v168, v12, v168 row_newbcast:0 row_mask:0xf bank_mask:0xf// 000000006D50: 0B5150FA FF01500C
	v_mul_f32_dpp v169, v12, v169 row_newbcast:1 row_mask:0xf bank_mask:0xf// 000000006D58: 0B5352FA FF01510C
	v_mul_f32_dpp v170, v12, v170 row_newbcast:2 row_mask:0xf bank_mask:0xf// 000000006D60: 0B5554FA FF01520C
	v_mul_f32_dpp v171, v12, v171 row_newbcast:3 row_mask:0xf bank_mask:0xf// 000000006D68: 0B5756FA FF01530C
	v_pk_mul_f32 v[168:169], v[44:45], v[168:169]              // 000000006D70: D3B140A8 1803512C
	v_pk_mul_f32 v[170:171], v[44:45], v[170:171]              // 000000006D78: D3B140AA 1803552C
	v_pk_mul_f32 v[176:177], v[42:43], v[176:177]              // 000000006D80: D3B140B0 1803612A
	v_pk_mul_f32 v[178:179], v[42:43], v[178:179]              // 000000006D88: D3B140B2 1803652A
	v_mul_f32_dpp v176, v12, v176 row_newbcast:4 row_mask:0xf bank_mask:0xf// 000000006D90: 0B6160FA FF01540C
	v_mul_f32_dpp v177, v12, v177 row_newbcast:5 row_mask:0xf bank_mask:0xf// 000000006D98: 0B6362FA FF01550C
	v_mul_f32_dpp v178, v12, v178 row_newbcast:6 row_mask:0xf bank_mask:0xf// 000000006DA0: 0B6564FA FF01560C
	v_mul_f32_dpp v179, v12, v179 row_newbcast:7 row_mask:0xf bank_mask:0xf// 000000006DA8: 0B6766FA FF01570C
	v_pk_mul_f32 v[176:177], v[44:45], v[176:177]              // 000000006DB0: D3B140B0 1803612C
	v_pk_mul_f32 v[178:179], v[44:45], v[178:179]              // 000000006DB8: D3B140B2 1803652C
	v_pk_mul_f32 v[184:185], v[42:43], v[184:185]              // 000000006DC0: D3B140B8 1803712A
	v_pk_mul_f32 v[186:187], v[42:43], v[186:187]              // 000000006DC8: D3B140BA 1803752A
	v_mul_f32_dpp v184, v12, v184 row_newbcast:8 row_mask:0xf bank_mask:0xf// 000000006DD0: 0B7170FA FF01580C
	v_mul_f32_dpp v185, v12, v185 row_newbcast:9 row_mask:0xf bank_mask:0xf// 000000006DD8: 0B7372FA FF01590C
	v_mul_f32_dpp v186, v12, v186 row_newbcast:10 row_mask:0xf bank_mask:0xf// 000000006DE0: 0B7574FA FF015A0C
	v_mul_f32_dpp v187, v12, v187 row_newbcast:11 row_mask:0xf bank_mask:0xf// 000000006DE8: 0B7776FA FF015B0C
	v_pk_mul_f32 v[184:185], v[44:45], v[184:185]              // 000000006DF0: D3B140B8 1803712C
	v_pk_mul_f32 v[186:187], v[44:45], v[186:187]              // 000000006DF8: D3B140BA 1803752C
	v_pk_mul_f32 v[192:193], v[42:43], v[192:193]              // 000000006E00: D3B140C0 1803812A
	v_pk_mul_f32 v[194:195], v[42:43], v[194:195]              // 000000006E08: D3B140C2 1803852A
	v_mul_f32_dpp v192, v12, v192 row_newbcast:12 row_mask:0xf bank_mask:0xf// 000000006E10: 0B8180FA FF015C0C
	v_mul_f32_dpp v193, v12, v193 row_newbcast:13 row_mask:0xf bank_mask:0xf// 000000006E18: 0B8382FA FF015D0C
	v_mul_f32_dpp v194, v12, v194 row_newbcast:14 row_mask:0xf bank_mask:0xf// 000000006E20: 0B8584FA FF015E0C
	v_mul_f32_dpp v195, v12, v195 row_newbcast:15 row_mask:0xf bank_mask:0xf// 000000006E28: 0B8786FA FF015F0C
	v_pk_mul_f32 v[192:193], v[44:45], v[192:193]              // 000000006E30: D3B140C0 1803812C
	v_pk_mul_f32 v[194:195], v[44:45], v[194:195]              // 000000006E38: D3B140C2 1803852C
	v_mov_b32_e32 v42, v25                                     // 000000006E40: 7E540319
	v_mov_b32_e32 v44, v21                                     // 000000006E44: 7E580315
	v_mov_b32_e32 v43, v42                                     // 000000006E48: 7E56032A
	v_mov_b32_e32 v45, v44                                     // 000000006E4C: 7E5A032C
	v_pk_mul_f32 v[172:173], v[42:43], v[172:173]              // 000000006E50: D3B140AC 1803592A
	v_pk_mul_f32 v[174:175], v[42:43], v[174:175]              // 000000006E58: D3B140AE 18035D2A
	v_mul_f32_dpp v172, v12, v172 row_newbcast:0 row_mask:0xf bank_mask:0xf// 000000006E60: 0B5958FA FF01500C
	v_mul_f32_dpp v173, v12, v173 row_newbcast:1 row_mask:0xf bank_mask:0xf// 000000006E68: 0B5B5AFA FF01510C
	v_mul_f32_dpp v174, v12, v174 row_newbcast:2 row_mask:0xf bank_mask:0xf// 000000006E70: 0B5D5CFA FF01520C
	v_mul_f32_dpp v175, v12, v175 row_newbcast:3 row_mask:0xf bank_mask:0xf// 000000006E78: 0B5F5EFA FF01530C
	v_pk_mul_f32 v[172:173], v[44:45], v[172:173]              // 000000006E80: D3B140AC 1803592C
	v_pk_mul_f32 v[174:175], v[44:45], v[174:175]              // 000000006E88: D3B140AE 18035D2C
	v_pk_mul_f32 v[180:181], v[42:43], v[180:181]              // 000000006E90: D3B140B4 1803692A
	v_pk_mul_f32 v[182:183], v[42:43], v[182:183]              // 000000006E98: D3B140B6 18036D2A
	v_mul_f32_dpp v180, v12, v180 row_newbcast:4 row_mask:0xf bank_mask:0xf// 000000006EA0: 0B6968FA FF01540C
	v_mul_f32_dpp v181, v12, v181 row_newbcast:5 row_mask:0xf bank_mask:0xf// 000000006EA8: 0B6B6AFA FF01550C
	v_mul_f32_dpp v182, v12, v182 row_newbcast:6 row_mask:0xf bank_mask:0xf// 000000006EB0: 0B6D6CFA FF01560C
	v_mul_f32_dpp v183, v12, v183 row_newbcast:7 row_mask:0xf bank_mask:0xf// 000000006EB8: 0B6F6EFA FF01570C
	v_pk_mul_f32 v[180:181], v[44:45], v[180:181]              // 000000006EC0: D3B140B4 1803692C
	v_pk_mul_f32 v[182:183], v[44:45], v[182:183]              // 000000006EC8: D3B140B6 18036D2C
	v_pk_mul_f32 v[188:189], v[42:43], v[188:189]              // 000000006ED0: D3B140BC 1803792A
	v_pk_mul_f32 v[190:191], v[42:43], v[190:191]              // 000000006ED8: D3B140BE 18037D2A
	v_mul_f32_dpp v188, v12, v188 row_newbcast:8 row_mask:0xf bank_mask:0xf// 000000006EE0: 0B7978FA FF01580C
	v_mul_f32_dpp v189, v12, v189 row_newbcast:9 row_mask:0xf bank_mask:0xf// 000000006EE8: 0B7B7AFA FF01590C
	v_mul_f32_dpp v190, v12, v190 row_newbcast:10 row_mask:0xf bank_mask:0xf// 000000006EF0: 0B7D7CFA FF015A0C
	v_mul_f32_dpp v191, v12, v191 row_newbcast:11 row_mask:0xf bank_mask:0xf// 000000006EF8: 0B7F7EFA FF015B0C
	v_pk_mul_f32 v[188:189], v[44:45], v[188:189]              // 000000006F00: D3B140BC 1803792C
	v_pk_mul_f32 v[190:191], v[44:45], v[190:191]              // 000000006F08: D3B140BE 18037D2C
	v_pk_mul_f32 v[196:197], v[42:43], v[196:197]              // 000000006F10: D3B140C4 1803892A
	v_pk_mul_f32 v[198:199], v[42:43], v[198:199]              // 000000006F18: D3B140C6 18038D2A
	v_mul_f32_dpp v196, v12, v196 row_newbcast:12 row_mask:0xf bank_mask:0xf// 000000006F20: 0B8988FA FF015C0C
	v_mul_f32_dpp v197, v12, v197 row_newbcast:13 row_mask:0xf bank_mask:0xf// 000000006F28: 0B8B8AFA FF015D0C
	v_mul_f32_dpp v198, v12, v198 row_newbcast:14 row_mask:0xf bank_mask:0xf// 000000006F30: 0B8D8CFA FF015E0C
	v_mul_f32_dpp v199, v12, v199 row_newbcast:15 row_mask:0xf bank_mask:0xf// 000000006F38: 0B8F8EFA FF015F0C
	v_pk_mul_f32 v[196:197], v[44:45], v[196:197]              // 000000006F40: D3B140C4 1803892C
	v_pk_mul_f32 v[198:199], v[44:45], v[198:199]              // 000000006F48: D3B140C6 18038D2C
	v_cmp_u_f32_e64 s[48:49], v168, v168                       // 000000006F50: D0480030 000351A8
	v_add3_u32 v50, v168, v53, 1                               // 000000006F58: D1FF0032 02066BA8
	v_cndmask_b32_e64 v42, v50, v52, s[48:49]                  // 000000006F60: D100002A 00C26932
	v_cmp_u_f32_e64 s[48:49], v169, v169                       // 000000006F68: D0480030 000353A9
	v_add3_u32 v50, v169, v53, 1                               // 000000006F70: D1FF0032 02066BA9
	v_cndmask_b32_e64 v43, v50, v52, s[48:49]                  // 000000006F78: D100002B 00C26932
	v_perm_b32 v168, v43, v42, s52                             // 000000006F80: D1ED00A8 00D2552B
	v_cmp_u_f32_e64 s[48:49], v170, v170                       // 000000006F88: D0480030 000355AA
	v_add3_u32 v50, v170, v53, 1                               // 000000006F90: D1FF0032 02066BAA
	v_cndmask_b32_e64 v42, v50, v52, s[48:49]                  // 000000006F98: D100002A 00C26932
	v_cmp_u_f32_e64 s[48:49], v171, v171                       // 000000006FA0: D0480030 000357AB
	v_add3_u32 v50, v171, v53, 1                               // 000000006FA8: D1FF0032 02066BAB
	v_cndmask_b32_e64 v43, v50, v52, s[48:49]                  // 000000006FB0: D100002B 00C26932
	v_perm_b32 v169, v43, v42, s52                             // 000000006FB8: D1ED00A9 00D2552B
	v_cmp_u_f32_e64 s[48:49], v172, v172                       // 000000006FC0: D0480030 000359AC
	v_add3_u32 v50, v172, v53, 1                               // 000000006FC8: D1FF0032 02066BAC
	v_cndmask_b32_e64 v42, v50, v52, s[48:49]                  // 000000006FD0: D100002A 00C26932
	v_cmp_u_f32_e64 s[48:49], v173, v173                       // 000000006FD8: D0480030 00035BAD
	v_add3_u32 v50, v173, v53, 1                               // 000000006FE0: D1FF0032 02066BAD
	v_cndmask_b32_e64 v43, v50, v52, s[48:49]                  // 000000006FE8: D100002B 00C26932
	v_perm_b32 v170, v43, v42, s52                             // 000000006FF0: D1ED00AA 00D2552B
	v_cmp_u_f32_e64 s[48:49], v174, v174                       // 000000006FF8: D0480030 00035DAE
	v_add3_u32 v50, v174, v53, 1                               // 000000007000: D1FF0032 02066BAE
	v_cndmask_b32_e64 v42, v50, v52, s[48:49]                  // 000000007008: D100002A 00C26932
	v_cmp_u_f32_e64 s[48:49], v175, v175                       // 000000007010: D0480030 00035FAF
	v_add3_u32 v50, v175, v53, 1                               // 000000007018: D1FF0032 02066BAF
	v_cndmask_b32_e64 v43, v50, v52, s[48:49]                  // 000000007020: D100002B 00C26932
	v_perm_b32 v171, v43, v42, s52                             // 000000007028: D1ED00AB 00D2552B
	v_cmp_u_f32_e64 s[48:49], v176, v176                       // 000000007030: D0480030 000361B0
	v_add3_u32 v50, v176, v53, 1                               // 000000007038: D1FF0032 02066BB0
	v_cndmask_b32_e64 v42, v50, v52, s[48:49]                  // 000000007040: D100002A 00C26932
	v_cmp_u_f32_e64 s[48:49], v177, v177                       // 000000007048: D0480030 000363B1
	v_add3_u32 v50, v177, v53, 1                               // 000000007050: D1FF0032 02066BB1
	v_cndmask_b32_e64 v43, v50, v52, s[48:49]                  // 000000007058: D100002B 00C26932
	v_perm_b32 v172, v43, v42, s52                             // 000000007060: D1ED00AC 00D2552B
	v_cmp_u_f32_e64 s[48:49], v178, v178                       // 000000007068: D0480030 000365B2
	v_add3_u32 v50, v178, v53, 1                               // 000000007070: D1FF0032 02066BB2
	v_cndmask_b32_e64 v42, v50, v52, s[48:49]                  // 000000007078: D100002A 00C26932
	v_cmp_u_f32_e64 s[48:49], v179, v179                       // 000000007080: D0480030 000367B3
	v_add3_u32 v50, v179, v53, 1                               // 000000007088: D1FF0032 02066BB3
	v_cndmask_b32_e64 v43, v50, v52, s[48:49]                  // 000000007090: D100002B 00C26932
	v_perm_b32 v173, v43, v42, s52                             // 000000007098: D1ED00AD 00D2552B
	v_cmp_u_f32_e64 s[48:49], v180, v180                       // 0000000070A0: D0480030 000369B4
	v_add3_u32 v50, v180, v53, 1                               // 0000000070A8: D1FF0032 02066BB4
	v_cndmask_b32_e64 v42, v50, v52, s[48:49]                  // 0000000070B0: D100002A 00C26932
	v_cmp_u_f32_e64 s[48:49], v181, v181                       // 0000000070B8: D0480030 00036BB5
	v_add3_u32 v50, v181, v53, 1                               // 0000000070C0: D1FF0032 02066BB5
	v_cndmask_b32_e64 v43, v50, v52, s[48:49]                  // 0000000070C8: D100002B 00C26932
	v_perm_b32 v174, v43, v42, s52                             // 0000000070D0: D1ED00AE 00D2552B
	v_cmp_u_f32_e64 s[48:49], v182, v182                       // 0000000070D8: D0480030 00036DB6
	v_add3_u32 v50, v182, v53, 1                               // 0000000070E0: D1FF0032 02066BB6
	v_cndmask_b32_e64 v42, v50, v52, s[48:49]                  // 0000000070E8: D100002A 00C26932
	v_cmp_u_f32_e64 s[48:49], v183, v183                       // 0000000070F0: D0480030 00036FB7
	v_add3_u32 v50, v183, v53, 1                               // 0000000070F8: D1FF0032 02066BB7
	v_cndmask_b32_e64 v43, v50, v52, s[48:49]                  // 000000007100: D100002B 00C26932
	v_perm_b32 v175, v43, v42, s52                             // 000000007108: D1ED00AF 00D2552B
	v_cmp_u_f32_e64 s[48:49], v184, v184                       // 000000007110: D0480030 000371B8
	v_add3_u32 v50, v184, v53, 1                               // 000000007118: D1FF0032 02066BB8
	v_cndmask_b32_e64 v42, v50, v52, s[48:49]                  // 000000007120: D100002A 00C26932
	v_cmp_u_f32_e64 s[48:49], v185, v185                       // 000000007128: D0480030 000373B9
	v_add3_u32 v50, v185, v53, 1                               // 000000007130: D1FF0032 02066BB9
	v_cndmask_b32_e64 v43, v50, v52, s[48:49]                  // 000000007138: D100002B 00C26932
	v_perm_b32 v176, v43, v42, s52                             // 000000007140: D1ED00B0 00D2552B
	v_cmp_u_f32_e64 s[48:49], v186, v186                       // 000000007148: D0480030 000375BA
	v_add3_u32 v50, v186, v53, 1                               // 000000007150: D1FF0032 02066BBA
	v_cndmask_b32_e64 v42, v50, v52, s[48:49]                  // 000000007158: D100002A 00C26932
	v_cmp_u_f32_e64 s[48:49], v187, v187                       // 000000007160: D0480030 000377BB
	v_add3_u32 v50, v187, v53, 1                               // 000000007168: D1FF0032 02066BBB
	v_cndmask_b32_e64 v43, v50, v52, s[48:49]                  // 000000007170: D100002B 00C26932
	v_perm_b32 v177, v43, v42, s52                             // 000000007178: D1ED00B1 00D2552B
	v_cmp_u_f32_e64 s[48:49], v188, v188                       // 000000007180: D0480030 000379BC
	v_add3_u32 v50, v188, v53, 1                               // 000000007188: D1FF0032 02066BBC
	v_cndmask_b32_e64 v42, v50, v52, s[48:49]                  // 000000007190: D100002A 00C26932
	v_cmp_u_f32_e64 s[48:49], v189, v189                       // 000000007198: D0480030 00037BBD
	v_add3_u32 v50, v189, v53, 1                               // 0000000071A0: D1FF0032 02066BBD
	v_cndmask_b32_e64 v43, v50, v52, s[48:49]                  // 0000000071A8: D100002B 00C26932
	v_perm_b32 v178, v43, v42, s52                             // 0000000071B0: D1ED00B2 00D2552B
	v_cmp_u_f32_e64 s[48:49], v190, v190                       // 0000000071B8: D0480030 00037DBE
	v_add3_u32 v50, v190, v53, 1                               // 0000000071C0: D1FF0032 02066BBE
	v_cndmask_b32_e64 v42, v50, v52, s[48:49]                  // 0000000071C8: D100002A 00C26932
	v_cmp_u_f32_e64 s[48:49], v191, v191                       // 0000000071D0: D0480030 00037FBF
	v_add3_u32 v50, v191, v53, 1                               // 0000000071D8: D1FF0032 02066BBF
	v_cndmask_b32_e64 v43, v50, v52, s[48:49]                  // 0000000071E0: D100002B 00C26932
	v_perm_b32 v179, v43, v42, s52                             // 0000000071E8: D1ED00B3 00D2552B
	v_cmp_u_f32_e64 s[48:49], v192, v192                       // 0000000071F0: D0480030 000381C0
	v_add3_u32 v50, v192, v53, 1                               // 0000000071F8: D1FF0032 02066BC0
	v_cndmask_b32_e64 v42, v50, v52, s[48:49]                  // 000000007200: D100002A 00C26932
	v_cmp_u_f32_e64 s[48:49], v193, v193                       // 000000007208: D0480030 000383C1
	v_add3_u32 v50, v193, v53, 1                               // 000000007210: D1FF0032 02066BC1
	v_cndmask_b32_e64 v43, v50, v52, s[48:49]                  // 000000007218: D100002B 00C26932
	v_perm_b32 v180, v43, v42, s52                             // 000000007220: D1ED00B4 00D2552B
	v_cmp_u_f32_e64 s[48:49], v194, v194                       // 000000007228: D0480030 000385C2
	v_add3_u32 v50, v194, v53, 1                               // 000000007230: D1FF0032 02066BC2
	v_cndmask_b32_e64 v42, v50, v52, s[48:49]                  // 000000007238: D100002A 00C26932
	v_cmp_u_f32_e64 s[48:49], v195, v195                       // 000000007240: D0480030 000387C3
	v_add3_u32 v50, v195, v53, 1                               // 000000007248: D1FF0032 02066BC3
	v_cndmask_b32_e64 v43, v50, v52, s[48:49]                  // 000000007250: D100002B 00C26932
	v_perm_b32 v181, v43, v42, s52                             // 000000007258: D1ED00B5 00D2552B
	v_cmp_u_f32_e64 s[48:49], v196, v196                       // 000000007260: D0480030 000389C4
	v_add3_u32 v50, v196, v53, 1                               // 000000007268: D1FF0032 02066BC4
	v_cndmask_b32_e64 v42, v50, v52, s[48:49]                  // 000000007270: D100002A 00C26932
	v_cmp_u_f32_e64 s[48:49], v197, v197                       // 000000007278: D0480030 00038BC5
	v_add3_u32 v50, v197, v53, 1                               // 000000007280: D1FF0032 02066BC5
	v_cndmask_b32_e64 v43, v50, v52, s[48:49]                  // 000000007288: D100002B 00C26932
	v_perm_b32 v182, v43, v42, s52                             // 000000007290: D1ED00B6 00D2552B
	v_cmp_u_f32_e64 s[48:49], v198, v198                       // 000000007298: D0480030 00038DC6
	v_add3_u32 v50, v198, v53, 1                               // 0000000072A0: D1FF0032 02066BC6
	v_cndmask_b32_e64 v42, v50, v52, s[48:49]                  // 0000000072A8: D100002A 00C26932
	v_cmp_u_f32_e64 s[48:49], v199, v199                       // 0000000072B0: D0480030 00038FC7
	v_add3_u32 v50, v199, v53, 1                               // 0000000072B8: D1FF0032 02066BC7
	v_cndmask_b32_e64 v43, v50, v52, s[48:49]                  // 0000000072C0: D100002B 00C26932
	v_perm_b32 v183, v43, v42, s52                             // 0000000072C8: D1ED00B7 00D2552B
	ds_write_b64 v3, v[168:169] offset:2048                    // 0000000072D0: D89A0800 0000A803
	ds_write_b64 v3, v[170:171] offset:10752                   // 0000000072D8: D89A2A00 0000AA03
	ds_write_b64 v3, v[172:173] offset:4224                    // 0000000072E0: D89A1080 0000AC03
	ds_write_b64 v3, v[174:175] offset:12928                   // 0000000072E8: D89A3280 0000AE03
	ds_write_b64 v3, v[176:177] offset:6400                    // 0000000072F0: D89A1900 0000B003
	ds_write_b64 v3, v[178:179] offset:15104                   // 0000000072F8: D89A3B00 0000B203
	ds_write_b64 v3, v[180:181] offset:8576                    // 000000007300: D89A2180 0000B403
	ds_write_b64 v3, v[182:183] offset:17280                   // 000000007308: D89A4380 0000B603
	s_waitcnt lgkmcnt(0)                                       // 000000007310: BF8CC07F
	s_barrier                                                  // 000000007314: BF8A0000
	ds_read_b32 v64, v4 offset:2048                            // 000000007318: D86C0800 40000004
	ds_read_b32 v65, v4 offset:6400                            // 000000007320: D86C1900 41000004
	ds_read_b32 v66, v4 offset:2080                            // 000000007328: D86C0820 42000004
	ds_read_b32 v67, v4 offset:6432                            // 000000007330: D86C1920 43000004
	ds_read_b32 v68, v4 offset:2112                            // 000000007338: D86C0840 44000004
	ds_read_b32 v69, v4 offset:6464                            // 000000007340: D86C1940 45000004
	ds_read_b32 v70, v4 offset:2144                            // 000000007348: D86C0860 46000004
	ds_read_b32 v71, v4 offset:6496                            // 000000007350: D86C1960 47000004
	ds_read_b32 v72, v4 offset:10752                           // 000000007358: D86C2A00 48000004
	ds_read_b32 v73, v4 offset:15104                           // 000000007360: D86C3B00 49000004
	ds_read_b32 v74, v4 offset:10784                           // 000000007368: D86C2A20 4A000004
	ds_read_b32 v75, v4 offset:15136                           // 000000007370: D86C3B20 4B000004
	ds_read_b32 v76, v4 offset:10816                           // 000000007378: D86C2A40 4C000004
	ds_read_b32 v77, v4 offset:15168                           // 000000007380: D86C3B40 4D000004
	ds_read_b32 v78, v4 offset:10848                           // 000000007388: D86C2A60 4E000004
	ds_read_b32 v79, v4 offset:15200                           // 000000007390: D86C3B60 4F000004
	s_waitcnt lgkmcnt(0)                                       // 000000007398: BF8CC07F
	s_mov_b64 exec, s[20:21]                                   // 00000000739C: BEFE0114
	global_atomic_pk_add_bf16 v80, v64, s[8:9]                 // 0000000073A0: DD488000 00084050
	s_mov_b64 exec, s[36:37]                                   // 0000000073A8: BEFE0124
	s_mov_b64 exec, s[20:21]                                   // 0000000073AC: BEFE0114
	global_atomic_pk_add_bf16 v80, v65, s[8:9] offset:256      // 0000000073B0: DD488100 00084150
	s_mov_b64 exec, s[36:37]                                   // 0000000073B8: BEFE0124
	s_mov_b64 exec, s[22:23]                                   // 0000000073BC: BEFE0116
	global_atomic_pk_add_bf16 v82, v66, s[8:9]                 // 0000000073C0: DD488000 00084252
	s_mov_b64 exec, s[36:37]                                   // 0000000073C8: BEFE0124
	s_mov_b64 exec, s[22:23]                                   // 0000000073CC: BEFE0116
	global_atomic_pk_add_bf16 v82, v67, s[8:9] offset:256      // 0000000073D0: DD488100 00084352
	s_mov_b64 exec, s[36:37]                                   // 0000000073D8: BEFE0124
	s_mov_b64 exec, s[24:25]                                   // 0000000073DC: BEFE0118
	global_atomic_pk_add_bf16 v84, v68, s[8:9]                 // 0000000073E0: DD488000 00084454
	s_mov_b64 exec, s[36:37]                                   // 0000000073E8: BEFE0124
	s_mov_b64 exec, s[24:25]                                   // 0000000073EC: BEFE0118
	global_atomic_pk_add_bf16 v84, v69, s[8:9] offset:256      // 0000000073F0: DD488100 00084554
	s_mov_b64 exec, s[36:37]                                   // 0000000073F8: BEFE0124
	s_mov_b64 exec, s[26:27]                                   // 0000000073FC: BEFE011A
	global_atomic_pk_add_bf16 v86, v70, s[8:9]                 // 000000007400: DD488000 00084656
	s_mov_b64 exec, s[36:37]                                   // 000000007408: BEFE0124
	s_mov_b64 exec, s[26:27]                                   // 00000000740C: BEFE011A
	global_atomic_pk_add_bf16 v86, v71, s[8:9] offset:256      // 000000007410: DD488100 00084756
	s_mov_b64 exec, s[36:37]                                   // 000000007418: BEFE0124
	s_mov_b64 exec, s[28:29]                                   // 00000000741C: BEFE011C
	global_atomic_pk_add_bf16 v88, v72, s[8:9]                 // 000000007420: DD488000 00084858
	s_mov_b64 exec, s[36:37]                                   // 000000007428: BEFE0124
	s_mov_b64 exec, s[28:29]                                   // 00000000742C: BEFE011C
	global_atomic_pk_add_bf16 v88, v73, s[8:9] offset:256      // 000000007430: DD488100 00084958
	s_mov_b64 exec, s[36:37]                                   // 000000007438: BEFE0124
	s_mov_b64 exec, s[30:31]                                   // 00000000743C: BEFE011E
	global_atomic_pk_add_bf16 v90, v74, s[8:9]                 // 000000007440: DD488000 00084A5A
	s_mov_b64 exec, s[36:37]                                   // 000000007448: BEFE0124
	s_mov_b64 exec, s[30:31]                                   // 00000000744C: BEFE011E
	global_atomic_pk_add_bf16 v90, v75, s[8:9] offset:256      // 000000007450: DD488100 00084B5A
	s_mov_b64 exec, s[36:37]                                   // 000000007458: BEFE0124
	s_mov_b64 exec, s[32:33]                                   // 00000000745C: BEFE0120
	global_atomic_pk_add_bf16 v92, v76, s[8:9]                 // 000000007460: DD488000 00084C5C
	s_mov_b64 exec, s[36:37]                                   // 000000007468: BEFE0124
	s_mov_b64 exec, s[32:33]                                   // 00000000746C: BEFE0120
	global_atomic_pk_add_bf16 v92, v77, s[8:9] offset:256      // 000000007470: DD488100 00084D5C
	s_mov_b64 exec, s[36:37]                                   // 000000007478: BEFE0124
	s_mov_b64 exec, s[34:35]                                   // 00000000747C: BEFE0122
	global_atomic_pk_add_bf16 v94, v78, s[8:9]                 // 000000007480: DD488000 00084E5E
	s_mov_b64 exec, s[36:37]                                   // 000000007488: BEFE0124
	s_mov_b64 exec, s[34:35]                                   // 00000000748C: BEFE0122
	global_atomic_pk_add_bf16 v94, v79, s[8:9] offset:256      // 000000007490: DD488100 00084F5E
	s_mov_b64 exec, s[36:37]                                   // 000000007498: BEFE0124
	s_add_u32 s8, s59, s8                                      // 00000000749C: 8008083B
	s_addc_u32 s9, 0, s9                                       // 0000000074A0: 82090980
	s_addk_i32 s80, 0x100                                      // 0000000074A4: B7500100
	s_cmp_lt_i32 s80, s81                                      // 0000000074A8: BF045150
	s_cbranch_scc0 label_152F                                  // 0000000074AC: BF8402C3
	s_waitcnt vmcnt(33)                                        // 0000000074B0: BF8C8F71
	s_barrier                                                  // 0000000074B4: BF8A0000
	v_mfma_f32_16x16x32_fp8_fp8 v[200:203], a[80:81], v[128:129], 0// 0000000074B8: D3F300C8 0A030150
	v_mfma_f32_16x16x32_fp8_fp8 v[200:203], a[82:83], v[130:131], v[200:203]// 0000000074C0: D3F300C8 0F230552
	buffer_load_dwordx4 a[0:3], v46, s[12:15], 0 offen         // 0000000074C8: E05C1000 8083002E
	v_mfma_f32_16x16x32_fp8_fp8 v[204:207], a[80:81], v[148:149], 0// 0000000074D0: D3F300CC 0A032950
	v_mfma_f32_16x16x32_fp8_fp8 v[204:207], a[82:83], v[150:151], v[204:207]// 0000000074D8: D3F300CC 0F332D52
	v_mfma_f32_16x16x32_fp8_fp8 v[208:211], a[84:85], v[128:129], 0// 0000000074E0: D3F300D0 0A030154
	v_mfma_f32_16x16x32_fp8_fp8 v[208:211], a[86:87], v[130:131], v[208:211]// 0000000074E8: D3F300D0 0F430556
	buffer_load_dwordx4 a[4:7], v47, s[12:15], 0 offen         // 0000000074F0: E05C1000 8083042F
	v_mfma_f32_16x16x32_fp8_fp8 v[212:215], a[84:85], v[148:149], 0// 0000000074F8: D3F300D4 0A032954
	v_mfma_f32_16x16x32_fp8_fp8 v[212:215], a[86:87], v[150:151], v[212:215]// 000000007500: D3F300D4 0F532D56
	v_mfma_f32_16x16x32_fp8_fp8 v[216:219], a[88:89], v[128:129], 0// 000000007508: D3F300D8 0A030158
	v_mfma_f32_16x16x32_fp8_fp8 v[216:219], a[90:91], v[130:131], v[216:219]// 000000007510: D3F300D8 0F63055A
	buffer_load_dwordx4 a[8:11], v48, s[12:15], 0 offen        // 000000007518: E05C1000 80830830
	v_mfma_f32_16x16x32_fp8_fp8 v[220:223], a[88:89], v[148:149], 0// 000000007520: D3F300DC 0A032958
	v_mfma_f32_16x16x32_fp8_fp8 v[220:223], a[90:91], v[150:151], v[220:223]// 000000007528: D3F300DC 0F732D5A
	v_mfma_f32_16x16x32_fp8_fp8 v[224:227], a[92:93], v[128:129], 0// 000000007530: D3F300E0 0A03015C
	v_mfma_f32_16x16x32_fp8_fp8 v[224:227], a[94:95], v[130:131], v[224:227]// 000000007538: D3F300E0 0F83055E
	buffer_load_dwordx4 a[12:15], v49, s[12:15], 0 offen       // 000000007540: E05C1000 80830C31
	s_add_u32 s12, s78, s12                                    // 000000007548: 800C0C4E
	s_addc_u32 s13, 0, s13                                     // 00000000754C: 820D0D80
	v_mfma_f32_16x16x32_fp8_fp8 v[228:231], a[92:93], v[148:149], 0// 000000007550: D3F300E4 0A03295C
	v_mfma_f32_16x16x32_fp8_fp8 v[228:231], a[94:95], v[150:151], v[228:231]// 000000007558: D3F300E4 0F932D5E
	s_waitcnt vmcnt(33)                                        // 000000007560: BF8C8F71
	v_mfma_f32_16x16x32_fp8_fp8 v[200:203], a[96:97], v[132:133], v[200:203]// 000000007564: D3F300C8 0F230960
	v_mfma_f32_16x16x32_fp8_fp8 v[200:203], a[98:99], v[134:135], v[200:203]// 00000000756C: D3F300C8 0F230D62
	buffer_load_dwordx4 a[16:19], v46, s[12:15], 0 offen       // 000000007574: E05C1000 8083102E
	v_mfma_f32_16x16x32_fp8_fp8 v[204:207], a[96:97], v[152:153], v[204:207]// 00000000757C: D3F300CC 0F333160
	v_mfma_f32_16x16x32_fp8_fp8 v[204:207], a[98:99], v[154:155], v[204:207]// 000000007584: D3F300CC 0F333562
	v_mfma_f32_16x16x32_fp8_fp8 v[208:211], a[100:101], v[132:133], v[208:211]// 00000000758C: D3F300D0 0F430964
	v_mfma_f32_16x16x32_fp8_fp8 v[208:211], a[102:103], v[134:135], v[208:211]// 000000007594: D3F300D0 0F430D66
	buffer_load_dwordx4 a[20:23], v47, s[12:15], 0 offen       // 00000000759C: E05C1000 8083142F
	v_mfma_f32_16x16x32_fp8_fp8 v[212:215], a[100:101], v[152:153], v[212:215]// 0000000075A4: D3F300D4 0F533164
	v_mfma_f32_16x16x32_fp8_fp8 v[212:215], a[102:103], v[154:155], v[212:215]// 0000000075AC: D3F300D4 0F533566
	v_mfma_f32_16x16x32_fp8_fp8 v[216:219], a[104:105], v[132:133], v[216:219]// 0000000075B4: D3F300D8 0F630968
	v_mfma_f32_16x16x32_fp8_fp8 v[216:219], a[106:107], v[134:135], v[216:219]// 0000000075BC: D3F300D8 0F630D6A
	buffer_load_dwordx4 a[24:27], v48, s[12:15], 0 offen       // 0000000075C4: E05C1000 80831830
	v_mfma_f32_16x16x32_fp8_fp8 v[220:223], a[104:105], v[152:153], v[220:223]// 0000000075CC: D3F300DC 0F733168
	v_mfma_f32_16x16x32_fp8_fp8 v[220:223], a[106:107], v[154:155], v[220:223]// 0000000075D4: D3F300DC 0F73356A
	v_mfma_f32_16x16x32_fp8_fp8 v[224:227], a[108:109], v[132:133], v[224:227]// 0000000075DC: D3F300E0 0F83096C
	v_mfma_f32_16x16x32_fp8_fp8 v[224:227], a[110:111], v[134:135], v[224:227]// 0000000075E4: D3F300E0 0F830D6E
	buffer_load_dwordx4 a[28:31], v49, s[12:15], 0 offen       // 0000000075EC: E05C1000 80831C31
	s_add_u32 s12, s78, s12                                    // 0000000075F4: 800C0C4E
	s_addc_u32 s13, 0, s13                                     // 0000000075F8: 820D0D80
	v_mfma_f32_16x16x32_fp8_fp8 v[228:231], a[108:109], v[152:153], v[228:231]// 0000000075FC: D3F300E4 0F93316C
	v_mfma_f32_16x16x32_fp8_fp8 v[228:231], a[110:111], v[154:155], v[228:231]// 000000007604: D3F300E4 0F93356E
	s_waitcnt vmcnt(33)                                        // 00000000760C: BF8C8F71
	v_mfma_f32_16x16x32_fp8_fp8 v[200:203], a[112:113], v[136:137], v[200:203]// 000000007610: D3F300C8 0F231170
	v_mfma_f32_16x16x32_fp8_fp8 v[200:203], a[114:115], v[138:139], v[200:203]// 000000007618: D3F300C8 0F231572
	buffer_load_dwordx4 a[32:35], v46, s[12:15], 0 offen       // 000000007620: E05C1000 8083202E
	v_mfma_f32_16x16x32_fp8_fp8 v[204:207], a[112:113], v[156:157], v[204:207]// 000000007628: D3F300CC 0F333970
	v_mfma_f32_16x16x32_fp8_fp8 v[204:207], a[114:115], v[158:159], v[204:207]// 000000007630: D3F300CC 0F333D72
	v_mfma_f32_16x16x32_fp8_fp8 v[208:211], a[116:117], v[136:137], v[208:211]// 000000007638: D3F300D0 0F431174
	v_mfma_f32_16x16x32_fp8_fp8 v[208:211], a[118:119], v[138:139], v[208:211]// 000000007640: D3F300D0 0F431576
	buffer_load_dwordx4 a[36:39], v47, s[12:15], 0 offen       // 000000007648: E05C1000 8083242F
	v_mfma_f32_16x16x32_fp8_fp8 v[212:215], a[116:117], v[156:157], v[212:215]// 000000007650: D3F300D4 0F533974
	v_mfma_f32_16x16x32_fp8_fp8 v[212:215], a[118:119], v[158:159], v[212:215]// 000000007658: D3F300D4 0F533D76
	v_mfma_f32_16x16x32_fp8_fp8 v[216:219], a[120:121], v[136:137], v[216:219]// 000000007660: D3F300D8 0F631178
	v_mfma_f32_16x16x32_fp8_fp8 v[216:219], a[122:123], v[138:139], v[216:219]// 000000007668: D3F300D8 0F63157A
	buffer_load_dwordx4 a[40:43], v48, s[12:15], 0 offen       // 000000007670: E05C1000 80832830
	v_mfma_f32_16x16x32_fp8_fp8 v[220:223], a[120:121], v[156:157], v[220:223]// 000000007678: D3F300DC 0F733978
	v_mfma_f32_16x16x32_fp8_fp8 v[220:223], a[122:123], v[158:159], v[220:223]// 000000007680: D3F300DC 0F733D7A
	v_mfma_f32_16x16x32_fp8_fp8 v[224:227], a[124:125], v[136:137], v[224:227]// 000000007688: D3F300E0 0F83117C
	v_mfma_f32_16x16x32_fp8_fp8 v[224:227], a[126:127], v[138:139], v[224:227]// 000000007690: D3F300E0 0F83157E
	buffer_load_dwordx4 a[44:47], v49, s[12:15], 0 offen       // 000000007698: E05C1000 80832C31
	s_add_u32 s12, s78, s12                                    // 0000000076A0: 800C0C4E
	s_addc_u32 s13, 0, s13                                     // 0000000076A4: 820D0D80
	v_mfma_f32_16x16x32_fp8_fp8 v[228:231], a[124:125], v[156:157], v[228:231]// 0000000076A8: D3F300E4 0F93397C
	v_mfma_f32_16x16x32_fp8_fp8 v[228:231], a[126:127], v[158:159], v[228:231]// 0000000076B0: D3F300E4 0F933D7E
	s_waitcnt vmcnt(33)                                        // 0000000076B8: BF8C8F71
	v_mfma_f32_16x16x32_fp8_fp8 v[200:203], a[128:129], v[140:141], v[200:203]// 0000000076BC: D3F300C8 0F231980
	v_mfma_f32_16x16x32_fp8_fp8 v[200:203], a[130:131], v[142:143], v[200:203]// 0000000076C4: D3F300C8 0F231D82
	buffer_load_dwordx4 a[48:51], v46, s[12:15], 0 offen       // 0000000076CC: E05C1000 8083302E
	v_mfma_f32_16x16x32_fp8_fp8 v[204:207], a[128:129], v[160:161], v[204:207]// 0000000076D4: D3F300CC 0F334180
	v_mfma_f32_16x16x32_fp8_fp8 v[204:207], a[130:131], v[162:163], v[204:207]// 0000000076DC: D3F300CC 0F334582
	v_mfma_f32_16x16x32_fp8_fp8 v[208:211], a[132:133], v[140:141], v[208:211]// 0000000076E4: D3F300D0 0F431984
	v_mfma_f32_16x16x32_fp8_fp8 v[208:211], a[134:135], v[142:143], v[208:211]// 0000000076EC: D3F300D0 0F431D86
	buffer_load_dwordx4 a[52:55], v47, s[12:15], 0 offen       // 0000000076F4: E05C1000 8083342F
	v_mfma_f32_16x16x32_fp8_fp8 v[212:215], a[132:133], v[160:161], v[212:215]// 0000000076FC: D3F300D4 0F534184
	v_mfma_f32_16x16x32_fp8_fp8 v[212:215], a[134:135], v[162:163], v[212:215]// 000000007704: D3F300D4 0F534586
	v_mfma_f32_16x16x32_fp8_fp8 v[216:219], a[136:137], v[140:141], v[216:219]// 00000000770C: D3F300D8 0F631988
	v_mfma_f32_16x16x32_fp8_fp8 v[216:219], a[138:139], v[142:143], v[216:219]// 000000007714: D3F300D8 0F631D8A
	buffer_load_dwordx4 a[56:59], v48, s[12:15], 0 offen       // 00000000771C: E05C1000 80833830
	v_mfma_f32_16x16x32_fp8_fp8 v[220:223], a[136:137], v[160:161], v[220:223]// 000000007724: D3F300DC 0F734188
	v_mfma_f32_16x16x32_fp8_fp8 v[220:223], a[138:139], v[162:163], v[220:223]// 00000000772C: D3F300DC 0F73458A
	v_mfma_f32_16x16x32_fp8_fp8 v[224:227], a[140:141], v[140:141], v[224:227]// 000000007734: D3F300E0 0F83198C
	v_mfma_f32_16x16x32_fp8_fp8 v[224:227], a[142:143], v[142:143], v[224:227]// 00000000773C: D3F300E0 0F831D8E
	buffer_load_dwordx4 a[60:63], v49, s[12:15], 0 offen       // 000000007744: E05C1000 80833C31
	s_add_u32 s12, s78, s12                                    // 00000000774C: 800C0C4E
	s_addc_u32 s13, 0, s13                                     // 000000007750: 820D0D80
	v_mfma_f32_16x16x32_fp8_fp8 v[228:231], a[140:141], v[160:161], v[228:231]// 000000007754: D3F300E4 0F93418C
	v_mfma_f32_16x16x32_fp8_fp8 v[228:231], a[142:143], v[162:163], v[228:231]// 00000000775C: D3F300E4 0F93458E
	s_waitcnt vmcnt(32)                                        // 000000007764: BF8C8F70
	v_mfma_f32_16x16x32_fp8_fp8 v[200:203], a[144:145], v[144:145], v[200:203]// 000000007768: D3F300C8 0F232190
	v_mfma_f32_16x16x32_fp8_fp8 v[200:203], a[146:147], v[146:147], v[200:203]// 000000007770: D3F300C8 0F232592
	buffer_load_dwordx4 a[64:67], v46, s[12:15], 0 offen       // 000000007778: E05C1000 8083402E
	v_mfma_f32_16x16x32_fp8_fp8 v[204:207], a[144:145], v[164:165], v[204:207]// 000000007780: D3F300CC 0F334990
	v_mfma_f32_16x16x32_fp8_fp8 v[204:207], a[146:147], v[166:167], v[204:207]// 000000007788: D3F300CC 0F334D92
	buffer_load_dword v12, v5, s[16:19], 0 offen               // 000000007790: E0501000 80040C05
	v_mfma_f32_16x16x32_fp8_fp8 v[208:211], a[148:149], v[144:145], v[208:211]// 000000007798: D3F300D0 0F432194
	v_mfma_f32_16x16x32_fp8_fp8 v[208:211], a[150:151], v[146:147], v[208:211]// 0000000077A0: D3F300D0 0F432596
	buffer_load_dwordx4 a[68:71], v47, s[12:15], 0 offen       // 0000000077A8: E05C1000 8083442F
	v_mfma_f32_16x16x32_fp8_fp8 v[212:215], a[148:149], v[164:165], v[212:215]// 0000000077B0: D3F300D4 0F534994
	v_mfma_f32_16x16x32_fp8_fp8 v[212:215], a[150:151], v[166:167], v[212:215]// 0000000077B8: D3F300D4 0F534D96
	v_mfma_f32_16x16x32_fp8_fp8 v[216:219], a[152:153], v[144:145], v[216:219]// 0000000077C0: D3F300D8 0F632198
	v_mfma_f32_16x16x32_fp8_fp8 v[216:219], a[154:155], v[146:147], v[216:219]// 0000000077C8: D3F300D8 0F63259A
	buffer_load_dwordx4 a[72:75], v48, s[12:15], 0 offen       // 0000000077D0: E05C1000 80834830
	v_mfma_f32_16x16x32_fp8_fp8 v[220:223], a[152:153], v[164:165], v[220:223]// 0000000077D8: D3F300DC 0F734998
	v_mfma_f32_16x16x32_fp8_fp8 v[220:223], a[154:155], v[166:167], v[220:223]// 0000000077E0: D3F300DC 0F734D9A
	v_mfma_f32_16x16x32_fp8_fp8 v[224:227], a[156:157], v[144:145], v[224:227]// 0000000077E8: D3F300E0 0F83219C
	v_mfma_f32_16x16x32_fp8_fp8 v[224:227], a[158:159], v[146:147], v[224:227]// 0000000077F0: D3F300E0 0F83259E
	buffer_load_dwordx4 a[76:79], v49, s[12:15], 0 offen       // 0000000077F8: E05C1000 80834C31
	v_mfma_f32_16x16x32_fp8_fp8 v[228:231], a[156:157], v[164:165], v[228:231]// 000000007800: D3F300E4 0F93499C
	v_mfma_f32_16x16x32_fp8_fp8 v[228:231], a[158:159], v[166:167], v[228:231]// 000000007808: D3F300E4 0F934D9E
	s_add_u32 s60, 0x200, s80                                  // 000000007810: 803C50FF 00000200
	s_cmp_lt_u32 s60, s81                                      // 000000007818: BF0A513C
	s_cselect_b32 s56, s56, 0                                  // 00000000781C: 85388038
	s_cselect_b32 s78, s78, 0                                  // 000000007820: 854E804E
	s_cselect_b32 s79, s79, 0                                  // 000000007824: 854F804F
	s_add_u32 s12, s56, s12                                    // 000000007828: 800C0C38
	s_addc_u32 s13, 0, s13                                     // 00000000782C: 820D0D80
	s_add_u32 s16, s79, s16                                    // 000000007830: 8010104F
	s_addc_u32 s17, 0, s17                                     // 000000007834: 82111180
	v_mov_b32_e32 v42, v24                                     // 000000007838: 7E540318
	v_mov_b32_e32 v44, v20                                     // 00000000783C: 7E580314
	v_mov_b32_e32 v43, v42                                     // 000000007840: 7E56032A
	v_mov_b32_e32 v45, v44                                     // 000000007844: 7E5A032C
	v_pk_mul_f32 v[200:201], v[42:43], v[200:201]              // 000000007848: D3B140C8 1803912A
	v_pk_mul_f32 v[202:203], v[42:43], v[202:203]              // 000000007850: D3B140CA 1803952A
	v_mul_f32_dpp v200, v13, v200 row_newbcast:0 row_mask:0xf bank_mask:0xf// 000000007858: 0B9190FA FF01500D
	v_mul_f32_dpp v201, v13, v201 row_newbcast:1 row_mask:0xf bank_mask:0xf// 000000007860: 0B9392FA FF01510D
	v_mul_f32_dpp v202, v13, v202 row_newbcast:2 row_mask:0xf bank_mask:0xf// 000000007868: 0B9594FA FF01520D
	v_mul_f32_dpp v203, v13, v203 row_newbcast:3 row_mask:0xf bank_mask:0xf// 000000007870: 0B9796FA FF01530D
	v_pk_mul_f32 v[200:201], v[44:45], v[200:201]              // 000000007878: D3B140C8 1803912C
	v_pk_mul_f32 v[202:203], v[44:45], v[202:203]              // 000000007880: D3B140CA 1803952C
	v_pk_mul_f32 v[208:209], v[42:43], v[208:209]              // 000000007888: D3B140D0 1803A12A
	v_pk_mul_f32 v[210:211], v[42:43], v[210:211]              // 000000007890: D3B140D2 1803A52A
	v_mul_f32_dpp v208, v13, v208 row_newbcast:4 row_mask:0xf bank_mask:0xf// 000000007898: 0BA1A0FA FF01540D
	v_mul_f32_dpp v209, v13, v209 row_newbcast:5 row_mask:0xf bank_mask:0xf// 0000000078A0: 0BA3A2FA FF01550D
	v_mul_f32_dpp v210, v13, v210 row_newbcast:6 row_mask:0xf bank_mask:0xf// 0000000078A8: 0BA5A4FA FF01560D
	v_mul_f32_dpp v211, v13, v211 row_newbcast:7 row_mask:0xf bank_mask:0xf// 0000000078B0: 0BA7A6FA FF01570D
	v_pk_mul_f32 v[208:209], v[44:45], v[208:209]              // 0000000078B8: D3B140D0 1803A12C
	v_pk_mul_f32 v[210:211], v[44:45], v[210:211]              // 0000000078C0: D3B140D2 1803A52C
	v_pk_mul_f32 v[216:217], v[42:43], v[216:217]              // 0000000078C8: D3B140D8 1803B12A
	v_pk_mul_f32 v[218:219], v[42:43], v[218:219]              // 0000000078D0: D3B140DA 1803B52A
	v_mul_f32_dpp v216, v13, v216 row_newbcast:8 row_mask:0xf bank_mask:0xf// 0000000078D8: 0BB1B0FA FF01580D
	v_mul_f32_dpp v217, v13, v217 row_newbcast:9 row_mask:0xf bank_mask:0xf// 0000000078E0: 0BB3B2FA FF01590D
	v_mul_f32_dpp v218, v13, v218 row_newbcast:10 row_mask:0xf bank_mask:0xf// 0000000078E8: 0BB5B4FA FF015A0D
	v_mul_f32_dpp v219, v13, v219 row_newbcast:11 row_mask:0xf bank_mask:0xf// 0000000078F0: 0BB7B6FA FF015B0D
	v_pk_mul_f32 v[216:217], v[44:45], v[216:217]              // 0000000078F8: D3B140D8 1803B12C
	v_pk_mul_f32 v[218:219], v[44:45], v[218:219]              // 000000007900: D3B140DA 1803B52C
	v_pk_mul_f32 v[224:225], v[42:43], v[224:225]              // 000000007908: D3B140E0 1803C12A
	v_pk_mul_f32 v[226:227], v[42:43], v[226:227]              // 000000007910: D3B140E2 1803C52A
	v_mul_f32_dpp v224, v13, v224 row_newbcast:12 row_mask:0xf bank_mask:0xf// 000000007918: 0BC1C0FA FF015C0D
	v_mul_f32_dpp v225, v13, v225 row_newbcast:13 row_mask:0xf bank_mask:0xf// 000000007920: 0BC3C2FA FF015D0D
	v_mul_f32_dpp v226, v13, v226 row_newbcast:14 row_mask:0xf bank_mask:0xf// 000000007928: 0BC5C4FA FF015E0D
	v_mul_f32_dpp v227, v13, v227 row_newbcast:15 row_mask:0xf bank_mask:0xf// 000000007930: 0BC7C6FA FF015F0D
	v_pk_mul_f32 v[224:225], v[44:45], v[224:225]              // 000000007938: D3B140E0 1803C12C
	v_pk_mul_f32 v[226:227], v[44:45], v[226:227]              // 000000007940: D3B140E2 1803C52C
	v_mov_b32_e32 v42, v25                                     // 000000007948: 7E540319
	v_mov_b32_e32 v44, v21                                     // 00000000794C: 7E580315
	v_mov_b32_e32 v43, v42                                     // 000000007950: 7E56032A
	v_mov_b32_e32 v45, v44                                     // 000000007954: 7E5A032C
	v_pk_mul_f32 v[204:205], v[42:43], v[204:205]              // 000000007958: D3B140CC 1803992A
	v_pk_mul_f32 v[206:207], v[42:43], v[206:207]              // 000000007960: D3B140CE 18039D2A
	v_mul_f32_dpp v204, v13, v204 row_newbcast:0 row_mask:0xf bank_mask:0xf// 000000007968: 0B9998FA FF01500D
	v_mul_f32_dpp v205, v13, v205 row_newbcast:1 row_mask:0xf bank_mask:0xf// 000000007970: 0B9B9AFA FF01510D
	v_mul_f32_dpp v206, v13, v206 row_newbcast:2 row_mask:0xf bank_mask:0xf// 000000007978: 0B9D9CFA FF01520D
	v_mul_f32_dpp v207, v13, v207 row_newbcast:3 row_mask:0xf bank_mask:0xf// 000000007980: 0B9F9EFA FF01530D
	v_pk_mul_f32 v[204:205], v[44:45], v[204:205]              // 000000007988: D3B140CC 1803992C
	v_pk_mul_f32 v[206:207], v[44:45], v[206:207]              // 000000007990: D3B140CE 18039D2C
	v_pk_mul_f32 v[212:213], v[42:43], v[212:213]              // 000000007998: D3B140D4 1803A92A
	v_pk_mul_f32 v[214:215], v[42:43], v[214:215]              // 0000000079A0: D3B140D6 1803AD2A
	v_mul_f32_dpp v212, v13, v212 row_newbcast:4 row_mask:0xf bank_mask:0xf// 0000000079A8: 0BA9A8FA FF01540D
	v_mul_f32_dpp v213, v13, v213 row_newbcast:5 row_mask:0xf bank_mask:0xf// 0000000079B0: 0BABAAFA FF01550D
	v_mul_f32_dpp v214, v13, v214 row_newbcast:6 row_mask:0xf bank_mask:0xf// 0000000079B8: 0BADACFA FF01560D
	v_mul_f32_dpp v215, v13, v215 row_newbcast:7 row_mask:0xf bank_mask:0xf// 0000000079C0: 0BAFAEFA FF01570D
	v_pk_mul_f32 v[212:213], v[44:45], v[212:213]              // 0000000079C8: D3B140D4 1803A92C
	v_pk_mul_f32 v[214:215], v[44:45], v[214:215]              // 0000000079D0: D3B140D6 1803AD2C
	v_pk_mul_f32 v[220:221], v[42:43], v[220:221]              // 0000000079D8: D3B140DC 1803B92A
	v_pk_mul_f32 v[222:223], v[42:43], v[222:223]              // 0000000079E0: D3B140DE 1803BD2A
	v_mul_f32_dpp v220, v13, v220 row_newbcast:8 row_mask:0xf bank_mask:0xf// 0000000079E8: 0BB9B8FA FF01580D
	v_mul_f32_dpp v221, v13, v221 row_newbcast:9 row_mask:0xf bank_mask:0xf// 0000000079F0: 0BBBBAFA FF01590D
	v_mul_f32_dpp v222, v13, v222 row_newbcast:10 row_mask:0xf bank_mask:0xf// 0000000079F8: 0BBDBCFA FF015A0D
	v_mul_f32_dpp v223, v13, v223 row_newbcast:11 row_mask:0xf bank_mask:0xf// 000000007A00: 0BBFBEFA FF015B0D
	v_pk_mul_f32 v[220:221], v[44:45], v[220:221]              // 000000007A08: D3B140DC 1803B92C
	v_pk_mul_f32 v[222:223], v[44:45], v[222:223]              // 000000007A10: D3B140DE 1803BD2C
	v_pk_mul_f32 v[228:229], v[42:43], v[228:229]              // 000000007A18: D3B140E4 1803C92A
	v_pk_mul_f32 v[230:231], v[42:43], v[230:231]              // 000000007A20: D3B140E6 1803CD2A
	v_mul_f32_dpp v228, v13, v228 row_newbcast:12 row_mask:0xf bank_mask:0xf// 000000007A28: 0BC9C8FA FF015C0D
	v_mul_f32_dpp v229, v13, v229 row_newbcast:13 row_mask:0xf bank_mask:0xf// 000000007A30: 0BCBCAFA FF015D0D
	v_mul_f32_dpp v230, v13, v230 row_newbcast:14 row_mask:0xf bank_mask:0xf// 000000007A38: 0BCDCCFA FF015E0D
	v_mul_f32_dpp v231, v13, v231 row_newbcast:15 row_mask:0xf bank_mask:0xf// 000000007A40: 0BCFCEFA FF015F0D
	v_pk_mul_f32 v[228:229], v[44:45], v[228:229]              // 000000007A48: D3B140E4 1803C92C
	v_pk_mul_f32 v[230:231], v[44:45], v[230:231]              // 000000007A50: D3B140E6 1803CD2C
	v_cmp_u_f32_e64 s[48:49], v200, v200                       // 000000007A58: D0480030 000391C8
	v_add3_u32 v50, v200, v53, 1                               // 000000007A60: D1FF0032 02066BC8
	v_cndmask_b32_e64 v42, v50, v52, s[48:49]                  // 000000007A68: D100002A 00C26932
	v_cmp_u_f32_e64 s[48:49], v201, v201                       // 000000007A70: D0480030 000393C9
	v_add3_u32 v50, v201, v53, 1                               // 000000007A78: D1FF0032 02066BC9
	v_cndmask_b32_e64 v43, v50, v52, s[48:49]                  // 000000007A80: D100002B 00C26932
	v_perm_b32 v200, v43, v42, s52                             // 000000007A88: D1ED00C8 00D2552B
	v_cmp_u_f32_e64 s[48:49], v202, v202                       // 000000007A90: D0480030 000395CA
	v_add3_u32 v50, v202, v53, 1                               // 000000007A98: D1FF0032 02066BCA
	v_cndmask_b32_e64 v42, v50, v52, s[48:49]                  // 000000007AA0: D100002A 00C26932
	v_cmp_u_f32_e64 s[48:49], v203, v203                       // 000000007AA8: D0480030 000397CB
	v_add3_u32 v50, v203, v53, 1                               // 000000007AB0: D1FF0032 02066BCB
	v_cndmask_b32_e64 v43, v50, v52, s[48:49]                  // 000000007AB8: D100002B 00C26932
	v_perm_b32 v201, v43, v42, s52                             // 000000007AC0: D1ED00C9 00D2552B
	v_cmp_u_f32_e64 s[48:49], v204, v204                       // 000000007AC8: D0480030 000399CC
	v_add3_u32 v50, v204, v53, 1                               // 000000007AD0: D1FF0032 02066BCC
	v_cndmask_b32_e64 v42, v50, v52, s[48:49]                  // 000000007AD8: D100002A 00C26932
	v_cmp_u_f32_e64 s[48:49], v205, v205                       // 000000007AE0: D0480030 00039BCD
	v_add3_u32 v50, v205, v53, 1                               // 000000007AE8: D1FF0032 02066BCD
	v_cndmask_b32_e64 v43, v50, v52, s[48:49]                  // 000000007AF0: D100002B 00C26932
	v_perm_b32 v202, v43, v42, s52                             // 000000007AF8: D1ED00CA 00D2552B
	v_cmp_u_f32_e64 s[48:49], v206, v206                       // 000000007B00: D0480030 00039DCE
	v_add3_u32 v50, v206, v53, 1                               // 000000007B08: D1FF0032 02066BCE
	v_cndmask_b32_e64 v42, v50, v52, s[48:49]                  // 000000007B10: D100002A 00C26932
	v_cmp_u_f32_e64 s[48:49], v207, v207                       // 000000007B18: D0480030 00039FCF
	v_add3_u32 v50, v207, v53, 1                               // 000000007B20: D1FF0032 02066BCF
	v_cndmask_b32_e64 v43, v50, v52, s[48:49]                  // 000000007B28: D100002B 00C26932
	v_perm_b32 v203, v43, v42, s52                             // 000000007B30: D1ED00CB 00D2552B
	v_cmp_u_f32_e64 s[48:49], v208, v208                       // 000000007B38: D0480030 0003A1D0
	v_add3_u32 v50, v208, v53, 1                               // 000000007B40: D1FF0032 02066BD0
	v_cndmask_b32_e64 v42, v50, v52, s[48:49]                  // 000000007B48: D100002A 00C26932
	v_cmp_u_f32_e64 s[48:49], v209, v209                       // 000000007B50: D0480030 0003A3D1
	v_add3_u32 v50, v209, v53, 1                               // 000000007B58: D1FF0032 02066BD1
	v_cndmask_b32_e64 v43, v50, v52, s[48:49]                  // 000000007B60: D100002B 00C26932
	v_perm_b32 v204, v43, v42, s52                             // 000000007B68: D1ED00CC 00D2552B
	v_cmp_u_f32_e64 s[48:49], v210, v210                       // 000000007B70: D0480030 0003A5D2
	v_add3_u32 v50, v210, v53, 1                               // 000000007B78: D1FF0032 02066BD2
	v_cndmask_b32_e64 v42, v50, v52, s[48:49]                  // 000000007B80: D100002A 00C26932
	v_cmp_u_f32_e64 s[48:49], v211, v211                       // 000000007B88: D0480030 0003A7D3
	v_add3_u32 v50, v211, v53, 1                               // 000000007B90: D1FF0032 02066BD3
	v_cndmask_b32_e64 v43, v50, v52, s[48:49]                  // 000000007B98: D100002B 00C26932
	v_perm_b32 v205, v43, v42, s52                             // 000000007BA0: D1ED00CD 00D2552B
	v_cmp_u_f32_e64 s[48:49], v212, v212                       // 000000007BA8: D0480030 0003A9D4
	v_add3_u32 v50, v212, v53, 1                               // 000000007BB0: D1FF0032 02066BD4
	v_cndmask_b32_e64 v42, v50, v52, s[48:49]                  // 000000007BB8: D100002A 00C26932
	v_cmp_u_f32_e64 s[48:49], v213, v213                       // 000000007BC0: D0480030 0003ABD5
	v_add3_u32 v50, v213, v53, 1                               // 000000007BC8: D1FF0032 02066BD5
	v_cndmask_b32_e64 v43, v50, v52, s[48:49]                  // 000000007BD0: D100002B 00C26932
	v_perm_b32 v206, v43, v42, s52                             // 000000007BD8: D1ED00CE 00D2552B
	v_cmp_u_f32_e64 s[48:49], v214, v214                       // 000000007BE0: D0480030 0003ADD6
	v_add3_u32 v50, v214, v53, 1                               // 000000007BE8: D1FF0032 02066BD6
	v_cndmask_b32_e64 v42, v50, v52, s[48:49]                  // 000000007BF0: D100002A 00C26932
	v_cmp_u_f32_e64 s[48:49], v215, v215                       // 000000007BF8: D0480030 0003AFD7
	v_add3_u32 v50, v215, v53, 1                               // 000000007C00: D1FF0032 02066BD7
	v_cndmask_b32_e64 v43, v50, v52, s[48:49]                  // 000000007C08: D100002B 00C26932
	v_perm_b32 v207, v43, v42, s52                             // 000000007C10: D1ED00CF 00D2552B
	v_cmp_u_f32_e64 s[48:49], v216, v216                       // 000000007C18: D0480030 0003B1D8
	v_add3_u32 v50, v216, v53, 1                               // 000000007C20: D1FF0032 02066BD8
	v_cndmask_b32_e64 v42, v50, v52, s[48:49]                  // 000000007C28: D100002A 00C26932
	v_cmp_u_f32_e64 s[48:49], v217, v217                       // 000000007C30: D0480030 0003B3D9
	v_add3_u32 v50, v217, v53, 1                               // 000000007C38: D1FF0032 02066BD9
	v_cndmask_b32_e64 v43, v50, v52, s[48:49]                  // 000000007C40: D100002B 00C26932
	v_perm_b32 v208, v43, v42, s52                             // 000000007C48: D1ED00D0 00D2552B
	v_cmp_u_f32_e64 s[48:49], v218, v218                       // 000000007C50: D0480030 0003B5DA
	v_add3_u32 v50, v218, v53, 1                               // 000000007C58: D1FF0032 02066BDA
	v_cndmask_b32_e64 v42, v50, v52, s[48:49]                  // 000000007C60: D100002A 00C26932
	v_cmp_u_f32_e64 s[48:49], v219, v219                       // 000000007C68: D0480030 0003B7DB
	v_add3_u32 v50, v219, v53, 1                               // 000000007C70: D1FF0032 02066BDB
	v_cndmask_b32_e64 v43, v50, v52, s[48:49]                  // 000000007C78: D100002B 00C26932
	v_perm_b32 v209, v43, v42, s52                             // 000000007C80: D1ED00D1 00D2552B
	v_cmp_u_f32_e64 s[48:49], v220, v220                       // 000000007C88: D0480030 0003B9DC
	v_add3_u32 v50, v220, v53, 1                               // 000000007C90: D1FF0032 02066BDC
	v_cndmask_b32_e64 v42, v50, v52, s[48:49]                  // 000000007C98: D100002A 00C26932
	v_cmp_u_f32_e64 s[48:49], v221, v221                       // 000000007CA0: D0480030 0003BBDD
	v_add3_u32 v50, v221, v53, 1                               // 000000007CA8: D1FF0032 02066BDD
	v_cndmask_b32_e64 v43, v50, v52, s[48:49]                  // 000000007CB0: D100002B 00C26932
	v_perm_b32 v210, v43, v42, s52                             // 000000007CB8: D1ED00D2 00D2552B
	v_cmp_u_f32_e64 s[48:49], v222, v222                       // 000000007CC0: D0480030 0003BDDE
	v_add3_u32 v50, v222, v53, 1                               // 000000007CC8: D1FF0032 02066BDE
	v_cndmask_b32_e64 v42, v50, v52, s[48:49]                  // 000000007CD0: D100002A 00C26932
	v_cmp_u_f32_e64 s[48:49], v223, v223                       // 000000007CD8: D0480030 0003BFDF
	v_add3_u32 v50, v223, v53, 1                               // 000000007CE0: D1FF0032 02066BDF
	v_cndmask_b32_e64 v43, v50, v52, s[48:49]                  // 000000007CE8: D100002B 00C26932
	v_perm_b32 v211, v43, v42, s52                             // 000000007CF0: D1ED00D3 00D2552B
	v_cmp_u_f32_e64 s[48:49], v224, v224                       // 000000007CF8: D0480030 0003C1E0
	v_add3_u32 v50, v224, v53, 1                               // 000000007D00: D1FF0032 02066BE0
	v_cndmask_b32_e64 v42, v50, v52, s[48:49]                  // 000000007D08: D100002A 00C26932
	v_cmp_u_f32_e64 s[48:49], v225, v225                       // 000000007D10: D0480030 0003C3E1
	v_add3_u32 v50, v225, v53, 1                               // 000000007D18: D1FF0032 02066BE1
	v_cndmask_b32_e64 v43, v50, v52, s[48:49]                  // 000000007D20: D100002B 00C26932
	v_perm_b32 v212, v43, v42, s52                             // 000000007D28: D1ED00D4 00D2552B
	v_cmp_u_f32_e64 s[48:49], v226, v226                       // 000000007D30: D0480030 0003C5E2
	v_add3_u32 v50, v226, v53, 1                               // 000000007D38: D1FF0032 02066BE2
	v_cndmask_b32_e64 v42, v50, v52, s[48:49]                  // 000000007D40: D100002A 00C26932
	v_cmp_u_f32_e64 s[48:49], v227, v227                       // 000000007D48: D0480030 0003C7E3
	v_add3_u32 v50, v227, v53, 1                               // 000000007D50: D1FF0032 02066BE3
	v_cndmask_b32_e64 v43, v50, v52, s[48:49]                  // 000000007D58: D100002B 00C26932
	v_perm_b32 v213, v43, v42, s52                             // 000000007D60: D1ED00D5 00D2552B
	v_cmp_u_f32_e64 s[48:49], v228, v228                       // 000000007D68: D0480030 0003C9E4
	v_add3_u32 v50, v228, v53, 1                               // 000000007D70: D1FF0032 02066BE4
	v_cndmask_b32_e64 v42, v50, v52, s[48:49]                  // 000000007D78: D100002A 00C26932
	v_cmp_u_f32_e64 s[48:49], v229, v229                       // 000000007D80: D0480030 0003CBE5
	v_add3_u32 v50, v229, v53, 1                               // 000000007D88: D1FF0032 02066BE5
	v_cndmask_b32_e64 v43, v50, v52, s[48:49]                  // 000000007D90: D100002B 00C26932
	v_perm_b32 v214, v43, v42, s52                             // 000000007D98: D1ED00D6 00D2552B
	v_cmp_u_f32_e64 s[48:49], v230, v230                       // 000000007DA0: D0480030 0003CDE6
	v_add3_u32 v50, v230, v53, 1                               // 000000007DA8: D1FF0032 02066BE6
	v_cndmask_b32_e64 v42, v50, v52, s[48:49]                  // 000000007DB0: D100002A 00C26932
	v_cmp_u_f32_e64 s[48:49], v231, v231                       // 000000007DB8: D0480030 0003CFE7
	v_add3_u32 v50, v231, v53, 1                               // 000000007DC0: D1FF0032 02066BE7
	v_cndmask_b32_e64 v43, v50, v52, s[48:49]                  // 000000007DC8: D100002B 00C26932
	v_perm_b32 v215, v43, v42, s52                             // 000000007DD0: D1ED00D7 00D2552B
	ds_write_b64 v3, v[200:201] offset:2048                    // 000000007DD8: D89A0800 0000C803
	ds_write_b64 v3, v[202:203] offset:10752                   // 000000007DE0: D89A2A00 0000CA03
	ds_write_b64 v3, v[204:205] offset:4224                    // 000000007DE8: D89A1080 0000CC03
	ds_write_b64 v3, v[206:207] offset:12928                   // 000000007DF0: D89A3280 0000CE03
	ds_write_b64 v3, v[208:209] offset:6400                    // 000000007DF8: D89A1900 0000D003
	ds_write_b64 v3, v[210:211] offset:15104                   // 000000007E00: D89A3B00 0000D203
	ds_write_b64 v3, v[212:213] offset:8576                    // 000000007E08: D89A2180 0000D403
	ds_write_b64 v3, v[214:215] offset:17280                   // 000000007E10: D89A4380 0000D603
	s_waitcnt lgkmcnt(0)                                       // 000000007E18: BF8CC07F
	s_barrier                                                  // 000000007E1C: BF8A0000
	ds_read_b32 v64, v4 offset:2048                            // 000000007E20: D86C0800 40000004
	ds_read_b32 v65, v4 offset:6400                            // 000000007E28: D86C1900 41000004
	ds_read_b32 v66, v4 offset:2080                            // 000000007E30: D86C0820 42000004
	ds_read_b32 v67, v4 offset:6432                            // 000000007E38: D86C1920 43000004
	ds_read_b32 v68, v4 offset:2112                            // 000000007E40: D86C0840 44000004
	ds_read_b32 v69, v4 offset:6464                            // 000000007E48: D86C1940 45000004
	ds_read_b32 v70, v4 offset:2144                            // 000000007E50: D86C0860 46000004
	ds_read_b32 v71, v4 offset:6496                            // 000000007E58: D86C1960 47000004
	ds_read_b32 v72, v4 offset:10752                           // 000000007E60: D86C2A00 48000004
	ds_read_b32 v73, v4 offset:15104                           // 000000007E68: D86C3B00 49000004
	ds_read_b32 v74, v4 offset:10784                           // 000000007E70: D86C2A20 4A000004
	ds_read_b32 v75, v4 offset:15136                           // 000000007E78: D86C3B20 4B000004
	ds_read_b32 v76, v4 offset:10816                           // 000000007E80: D86C2A40 4C000004
	ds_read_b32 v77, v4 offset:15168                           // 000000007E88: D86C3B40 4D000004
	ds_read_b32 v78, v4 offset:10848                           // 000000007E90: D86C2A60 4E000004
	ds_read_b32 v79, v4 offset:15200                           // 000000007E98: D86C3B60 4F000004
	s_waitcnt lgkmcnt(0)                                       // 000000007EA0: BF8CC07F
	s_mov_b64 exec, s[20:21]                                   // 000000007EA4: BEFE0114
	global_atomic_pk_add_bf16 v80, v64, s[8:9]                 // 000000007EA8: DD488000 00084050
	s_mov_b64 exec, s[36:37]                                   // 000000007EB0: BEFE0124
	s_mov_b64 exec, s[20:21]                                   // 000000007EB4: BEFE0114
	global_atomic_pk_add_bf16 v80, v65, s[8:9] offset:256      // 000000007EB8: DD488100 00084150
	s_mov_b64 exec, s[36:37]                                   // 000000007EC0: BEFE0124
	s_mov_b64 exec, s[22:23]                                   // 000000007EC4: BEFE0116
	global_atomic_pk_add_bf16 v82, v66, s[8:9]                 // 000000007EC8: DD488000 00084252
	s_mov_b64 exec, s[36:37]                                   // 000000007ED0: BEFE0124
	s_mov_b64 exec, s[22:23]                                   // 000000007ED4: BEFE0116
	global_atomic_pk_add_bf16 v82, v67, s[8:9] offset:256      // 000000007ED8: DD488100 00084352
	s_mov_b64 exec, s[36:37]                                   // 000000007EE0: BEFE0124
	s_mov_b64 exec, s[24:25]                                   // 000000007EE4: BEFE0118
	global_atomic_pk_add_bf16 v84, v68, s[8:9]                 // 000000007EE8: DD488000 00084454
	s_mov_b64 exec, s[36:37]                                   // 000000007EF0: BEFE0124
	s_mov_b64 exec, s[24:25]                                   // 000000007EF4: BEFE0118
	global_atomic_pk_add_bf16 v84, v69, s[8:9] offset:256      // 000000007EF8: DD488100 00084554
	s_mov_b64 exec, s[36:37]                                   // 000000007F00: BEFE0124
	s_mov_b64 exec, s[26:27]                                   // 000000007F04: BEFE011A
	global_atomic_pk_add_bf16 v86, v70, s[8:9]                 // 000000007F08: DD488000 00084656
	s_mov_b64 exec, s[36:37]                                   // 000000007F10: BEFE0124
	s_mov_b64 exec, s[26:27]                                   // 000000007F14: BEFE011A
	global_atomic_pk_add_bf16 v86, v71, s[8:9] offset:256      // 000000007F18: DD488100 00084756
	s_mov_b64 exec, s[36:37]                                   // 000000007F20: BEFE0124
	s_mov_b64 exec, s[28:29]                                   // 000000007F24: BEFE011C
	global_atomic_pk_add_bf16 v88, v72, s[8:9]                 // 000000007F28: DD488000 00084858
	s_mov_b64 exec, s[36:37]                                   // 000000007F30: BEFE0124
	s_mov_b64 exec, s[28:29]                                   // 000000007F34: BEFE011C
	global_atomic_pk_add_bf16 v88, v73, s[8:9] offset:256      // 000000007F38: DD488100 00084958
	s_mov_b64 exec, s[36:37]                                   // 000000007F40: BEFE0124
	s_mov_b64 exec, s[30:31]                                   // 000000007F44: BEFE011E
	global_atomic_pk_add_bf16 v90, v74, s[8:9]                 // 000000007F48: DD488000 00084A5A
	s_mov_b64 exec, s[36:37]                                   // 000000007F50: BEFE0124
	s_mov_b64 exec, s[30:31]                                   // 000000007F54: BEFE011E
	global_atomic_pk_add_bf16 v90, v75, s[8:9] offset:256      // 000000007F58: DD488100 00084B5A
	s_mov_b64 exec, s[36:37]                                   // 000000007F60: BEFE0124
	s_mov_b64 exec, s[32:33]                                   // 000000007F64: BEFE0120
	global_atomic_pk_add_bf16 v92, v76, s[8:9]                 // 000000007F68: DD488000 00084C5C
	s_mov_b64 exec, s[36:37]                                   // 000000007F70: BEFE0124
	s_mov_b64 exec, s[32:33]                                   // 000000007F74: BEFE0120
	global_atomic_pk_add_bf16 v92, v77, s[8:9] offset:256      // 000000007F78: DD488100 00084D5C
	s_mov_b64 exec, s[36:37]                                   // 000000007F80: BEFE0124
	s_mov_b64 exec, s[34:35]                                   // 000000007F84: BEFE0122
	global_atomic_pk_add_bf16 v94, v78, s[8:9]                 // 000000007F88: DD488000 00084E5E
	s_mov_b64 exec, s[36:37]                                   // 000000007F90: BEFE0124
	s_mov_b64 exec, s[34:35]                                   // 000000007F94: BEFE0122
	global_atomic_pk_add_bf16 v94, v79, s[8:9] offset:256      // 000000007F98: DD488100 00084F5E
	s_mov_b64 exec, s[36:37]                                   // 000000007FA0: BEFE0124
	s_add_u32 s8, s59, s8                                      // 000000007FA4: 8008083B
	s_addc_u32 s9, 0, s9                                       // 000000007FA8: 82090980
	s_addk_i32 s80, 0x100                                      // 000000007FAC: B7500100
	s_cmp_lt_i32 s80, s81                                      // 000000007FB0: BF045150
	s_cbranch_scc0 label_152F                                  // 000000007FB4: BF840001
	s_branch label_0FAA                                        // 000000007FB8: BF82FA7B

0000000000007fbc <label_152F>:
	s_nop 0                                                    // 000000007FBC: BF800000
	s_nop 0                                                    // 000000007FC0: BF800000
	s_branch label_2697                                        // 000000007FC4: BF821165

0000000000007fc8 <label_1532>:
	v_rcp_f32_e32 v42, v24                                     // 000000007FC8: 7E544518
	v_rcp_f32_e32 v44, v25                                     // 000000007FCC: 7E584519
	v_mov_b32_e32 v43, v42                                     // 000000007FD0: 7E56032A
	v_mov_b32_e32 v45, v44                                     // 000000007FD4: 7E5A032C
	v_pk_mul_f32 v[128:129], v[42:43], v[128:129]              // 000000007FD8: D3B14080 1803012A
	v_pk_mul_f32 v[130:131], v[42:43], v[130:131]              // 000000007FE0: D3B14082 1803052A
	v_pk_mul_f32 v[132:133], v[44:45], v[132:133]              // 000000007FE8: D3B14084 1803092C
	v_pk_mul_f32 v[134:135], v[44:45], v[134:135]              // 000000007FF0: D3B14086 18030D2C
	v_pk_mul_f32 v[136:137], v[42:43], v[136:137]              // 000000007FF8: D3B14088 1803112A
	v_pk_mul_f32 v[138:139], v[42:43], v[138:139]              // 000000008000: D3B1408A 1803152A
	v_pk_mul_f32 v[140:141], v[44:45], v[140:141]              // 000000008008: D3B1408C 1803192C
	v_pk_mul_f32 v[142:143], v[44:45], v[142:143]              // 000000008010: D3B1408E 18031D2C
	v_pk_mul_f32 v[144:145], v[42:43], v[144:145]              // 000000008018: D3B14090 1803212A
	v_pk_mul_f32 v[146:147], v[42:43], v[146:147]              // 000000008020: D3B14092 1803252A
	v_pk_mul_f32 v[148:149], v[44:45], v[148:149]              // 000000008028: D3B14094 1803292C
	v_pk_mul_f32 v[150:151], v[44:45], v[150:151]              // 000000008030: D3B14096 18032D2C
	v_pk_mul_f32 v[152:153], v[42:43], v[152:153]              // 000000008038: D3B14098 1803312A
	v_pk_mul_f32 v[154:155], v[42:43], v[154:155]              // 000000008040: D3B1409A 1803352A
	v_pk_mul_f32 v[156:157], v[44:45], v[156:157]              // 000000008048: D3B1409C 1803392C
	v_pk_mul_f32 v[158:159], v[44:45], v[158:159]              // 000000008050: D3B1409E 18033D2C
	v_pk_mul_f32 v[160:161], v[42:43], v[160:161]              // 000000008058: D3B140A0 1803412A
	v_pk_mul_f32 v[162:163], v[42:43], v[162:163]              // 000000008060: D3B140A2 1803452A
	v_pk_mul_f32 v[164:165], v[44:45], v[164:165]              // 000000008068: D3B140A4 1803492C
	v_pk_mul_f32 v[166:167], v[44:45], v[166:167]              // 000000008070: D3B140A6 18034D2C
	s_waitcnt vmcnt(12) lgkmcnt(0)                             // 000000008078: BF8C007C
	s_barrier                                                  // 00000000807C: BF8A0000
	v_mfma_f32_16x16x32_fp8_fp8 v[128:131], a[0:1], v[168:169], v[128:131]// 000000008080: D3F30080 0E035100
	buffer_load_dwordx4 a[80:83], v36, s[92:95], 0 offen       // 000000008088: E05C1000 80975024
	v_mfma_f32_16x16x32_fp8_fp8 v[128:131], a[2:3], v[170:171], v[128:131]// 000000008090: D3F30080 0E035502
	v_mfma_f32_16x16x32_fp8_fp8 v[128:131], a[4:5], v[172:173], v[128:131]// 000000008098: D3F30080 0E035904
	buffer_load_dword v28, s[20:23], 0 offen lds               // 0000000080A0: E0511000 8005001C
	buffer_load_dword v28, s[20:23], 0 offen offset:256 lds    // 0000000080A8: E0511100 8005001C
	s_add_u32 m0, 0x820, s51                                   // 0000000080B0: 807C33FF 00000820
	v_mfma_f32_16x16x32_fp8_fp8 v[128:131], a[6:7], v[174:175], v[128:131]// 0000000080B8: D3F30080 0E035D06
	v_mfma_f32_16x16x32_fp8_fp8 v[128:131], a[8:9], v[176:177], v[128:131]// 0000000080C0: D3F30080 0E036108
	buffer_load_dwordx4 a[84:87], v36, s[92:95], 0 offen offset:1024// 0000000080C8: E05C1400 80975424
	v_mfma_f32_16x16x32_fp8_fp8 v[128:131], a[10:11], v[178:179], v[128:131]// 0000000080D0: D3F30080 0E03650A
	v_mfma_f32_16x16x32_fp8_fp8 v[128:131], a[12:13], v[180:181], v[128:131]// 0000000080D8: D3F30080 0E03690C
	buffer_load_dword v29, s[20:23], 0 offen lds               // 0000000080E0: E0511000 8005001D
	buffer_load_dword v29, s[20:23], 0 offen offset:256 lds    // 0000000080E8: E0511100 8005001D
	s_add_u32 m0, 0x1040, s51                                  // 0000000080F0: 807C33FF 00001040
	v_mfma_f32_16x16x32_fp8_fp8 v[128:131], a[14:15], v[182:183], v[128:131]// 0000000080F8: D3F30080 0E036D0E
	v_mfma_f32_16x16x32_fp8_fp8 v[132:135], a[0:1], v[184:185], v[132:135]// 000000008100: D3F30084 0E137100
	buffer_load_dwordx4 a[88:91], v36, s[92:95], 0 offen offset:2048// 000000008108: E05C1800 80975824
	v_mfma_f32_16x16x32_fp8_fp8 v[132:135], a[2:3], v[186:187], v[132:135]// 000000008110: D3F30084 0E137502
	v_mfma_f32_16x16x32_fp8_fp8 v[132:135], a[4:5], v[188:189], v[132:135]// 000000008118: D3F30084 0E137904
	buffer_load_dword v30, s[20:23], 0 offen lds               // 000000008120: E0511000 8005001E
	buffer_load_dword v30, s[20:23], 0 offen offset:256 lds    // 000000008128: E0511100 8005001E
	s_add_u32 m0, 0x1860, s51                                  // 000000008130: 807C33FF 00001860
	v_mfma_f32_16x16x32_fp8_fp8 v[132:135], a[6:7], v[190:191], v[132:135]// 000000008138: D3F30084 0E137D06
	v_mfma_f32_16x16x32_fp8_fp8 v[132:135], a[8:9], v[192:193], v[132:135]// 000000008140: D3F30084 0E138108
	buffer_load_dwordx4 a[92:95], v36, s[92:95], 0 offen offset:3072// 000000008148: E05C1C00 80975C24
	v_mfma_f32_16x16x32_fp8_fp8 v[132:135], a[10:11], v[194:195], v[132:135]// 000000008150: D3F30084 0E13850A
	v_mfma_f32_16x16x32_fp8_fp8 v[132:135], a[12:13], v[196:197], v[132:135]// 000000008158: D3F30084 0E13890C
	buffer_load_dword v31, s[20:23], 0 offen lds               // 000000008160: E0511000 8005001F
	buffer_load_dword v31, s[20:23], 0 offen offset:256 lds    // 000000008168: E0511100 8005001F
	s_add_u32 m0, 0x2080, s51                                  // 000000008170: 807C33FF 00002080
	v_mfma_f32_16x16x32_fp8_fp8 v[132:135], a[14:15], v[198:199], v[132:135]// 000000008178: D3F30084 0E138D0E
	v_mfma_f32_16x16x32_fp8_fp8 v[136:139], a[16:17], v[168:169], v[136:139]// 000000008180: D3F30088 0E235110
	buffer_load_dwordx4 a[96:99], v37, s[92:95], 0 offen       // 000000008188: E05C1000 80976025
	v_mfma_f32_16x16x32_fp8_fp8 v[136:139], a[18:19], v[170:171], v[136:139]// 000000008190: D3F30088 0E235512
	v_mfma_f32_16x16x32_fp8_fp8 v[136:139], a[20:21], v[172:173], v[136:139]// 000000008198: D3F30088 0E235914
	buffer_load_dword v32, s[20:23], 0 offen lds               // 0000000081A0: E0511000 80050020
	buffer_load_dword v32, s[20:23], 0 offen offset:256 lds    // 0000000081A8: E0511100 80050020
	s_add_u32 m0, 0x28a0, s51                                  // 0000000081B0: 807C33FF 000028A0
	v_mfma_f32_16x16x32_fp8_fp8 v[136:139], a[22:23], v[174:175], v[136:139]// 0000000081B8: D3F30088 0E235D16
	v_mfma_f32_16x16x32_fp8_fp8 v[136:139], a[24:25], v[176:177], v[136:139]// 0000000081C0: D3F30088 0E236118
	buffer_load_dwordx4 a[100:103], v37, s[92:95], 0 offen offset:1024// 0000000081C8: E05C1400 80976425
	v_mfma_f32_16x16x32_fp8_fp8 v[136:139], a[26:27], v[178:179], v[136:139]// 0000000081D0: D3F30088 0E23651A
	v_mfma_f32_16x16x32_fp8_fp8 v[136:139], a[28:29], v[180:181], v[136:139]// 0000000081D8: D3F30088 0E23691C
	buffer_load_dword v33, s[20:23], 0 offen lds               // 0000000081E0: E0511000 80050021
	buffer_load_dword v33, s[20:23], 0 offen offset:256 lds    // 0000000081E8: E0511100 80050021
	s_add_u32 m0, 0x30c0, s51                                  // 0000000081F0: 807C33FF 000030C0
	v_mfma_f32_16x16x32_fp8_fp8 v[136:139], a[30:31], v[182:183], v[136:139]// 0000000081F8: D3F30088 0E236D1E
	v_mfma_f32_16x16x32_fp8_fp8 v[140:143], a[16:17], v[184:185], v[140:143]// 000000008200: D3F3008C 0E337110
	buffer_load_dwordx4 a[104:107], v37, s[92:95], 0 offen offset:2048// 000000008208: E05C1800 80976825
	v_mfma_f32_16x16x32_fp8_fp8 v[140:143], a[18:19], v[186:187], v[140:143]// 000000008210: D3F3008C 0E337512
	v_mfma_f32_16x16x32_fp8_fp8 v[140:143], a[20:21], v[188:189], v[140:143]// 000000008218: D3F3008C 0E337914
	buffer_load_dword v34, s[20:23], 0 offen lds               // 000000008220: E0511000 80050022
	buffer_load_dword v34, s[20:23], 0 offen offset:256 lds    // 000000008228: E0511100 80050022
	s_add_u32 m0, 0x38e0, s51                                  // 000000008230: 807C33FF 000038E0
	v_mfma_f32_16x16x32_fp8_fp8 v[140:143], a[22:23], v[190:191], v[140:143]// 000000008238: D3F3008C 0E337D16
	v_mfma_f32_16x16x32_fp8_fp8 v[140:143], a[24:25], v[192:193], v[140:143]// 000000008240: D3F3008C 0E338118
	buffer_load_dwordx4 a[108:111], v37, s[92:95], 0 offen offset:3072// 000000008248: E05C1C00 80976C25
	v_mfma_f32_16x16x32_fp8_fp8 v[140:143], a[26:27], v[194:195], v[140:143]// 000000008250: D3F3008C 0E33851A
	v_mfma_f32_16x16x32_fp8_fp8 v[140:143], a[28:29], v[196:197], v[140:143]// 000000008258: D3F3008C 0E33891C
	buffer_load_dword v35, s[20:23], 0 offen lds               // 000000008260: E0511000 80050023
	buffer_load_dword v35, s[20:23], 0 offen offset:256 lds    // 000000008268: E0511100 80050023
	s_add_u32 m0, 0, s50                                       // 000000008270: 807C3280
	v_mfma_f32_16x16x32_fp8_fp8 v[140:143], a[30:31], v[198:199], v[140:143]// 000000008274: D3F3008C 0E338D1E
	buffer_load_dword v15, v6, s[28:31], 0 offen               // 00000000827C: E0501000 80070F06
	s_waitcnt vmcnt(33)                                        // 000000008284: BF8C8F71
	v_mfma_f32_16x16x32_fp8_fp8 v[144:147], a[32:33], v[168:169], v[144:147]// 000000008288: D3F30090 0E435120
	buffer_load_dwordx4 a[112:115], v38, s[92:95], 0 offen     // 000000008290: E05C1000 80977026
	v_mfma_f32_16x16x32_fp8_fp8 v[144:147], a[34:35], v[170:171], v[144:147]// 000000008298: D3F30090 0E435522
	v_mfma_f32_16x16x32_fp8_fp8 v[144:147], a[36:37], v[172:173], v[144:147]// 0000000082A0: D3F30090 0E435924
	v_mfma_f32_16x16x32_fp8_fp8 v[144:147], a[38:39], v[174:175], v[144:147]// 0000000082A8: D3F30090 0E435D26
	v_mfma_f32_16x16x32_fp8_fp8 v[144:147], a[40:41], v[176:177], v[144:147]// 0000000082B0: D3F30090 0E436128
	buffer_load_dwordx4 a[116:119], v38, s[92:95], 0 offen offset:1024// 0000000082B8: E05C1400 80977426
	v_mfma_f32_16x16x32_fp8_fp8 v[144:147], a[42:43], v[178:179], v[144:147]// 0000000082C0: D3F30090 0E43652A
	v_mfma_f32_16x16x32_fp8_fp8 v[144:147], a[44:45], v[180:181], v[144:147]// 0000000082C8: D3F30090 0E43692C
	v_mfma_f32_16x16x32_fp8_fp8 v[144:147], a[46:47], v[182:183], v[144:147]// 0000000082D0: D3F30090 0E436D2E
	v_mfma_f32_16x16x32_fp8_fp8 v[148:151], a[32:33], v[184:185], v[148:151]// 0000000082D8: D3F30094 0E537120
	buffer_load_dwordx4 a[120:123], v38, s[92:95], 0 offen offset:2048// 0000000082E0: E05C1800 80977826
	v_mfma_f32_16x16x32_fp8_fp8 v[148:151], a[34:35], v[186:187], v[148:151]// 0000000082E8: D3F30094 0E537522
	v_mfma_f32_16x16x32_fp8_fp8 v[148:151], a[36:37], v[188:189], v[148:151]// 0000000082F0: D3F30094 0E537924
	v_mfma_f32_16x16x32_fp8_fp8 v[148:151], a[38:39], v[190:191], v[148:151]// 0000000082F8: D3F30094 0E537D26
	v_mfma_f32_16x16x32_fp8_fp8 v[148:151], a[40:41], v[192:193], v[148:151]// 000000008300: D3F30094 0E538128
	buffer_load_dwordx4 a[124:127], v38, s[92:95], 0 offen offset:3072// 000000008308: E05C1C00 80977C26
	v_mfma_f32_16x16x32_fp8_fp8 v[148:151], a[42:43], v[194:195], v[148:151]// 000000008310: D3F30094 0E53852A
	v_mfma_f32_16x16x32_fp8_fp8 v[148:151], a[44:45], v[196:197], v[148:151]// 000000008318: D3F30094 0E53892C
	v_mfma_f32_16x16x32_fp8_fp8 v[148:151], a[46:47], v[198:199], v[148:151]// 000000008320: D3F30094 0E538D2E
	s_waitcnt vmcnt(33)                                        // 000000008328: BF8C8F71
	v_mfma_f32_16x16x32_fp8_fp8 v[152:155], a[48:49], v[168:169], v[152:155]// 00000000832C: D3F30098 0E635130
	buffer_load_dwordx4 a[128:131], v39, s[92:95], 0 offen     // 000000008334: E05C1000 80978027
	v_mfma_f32_16x16x32_fp8_fp8 v[152:155], a[50:51], v[170:171], v[152:155]// 00000000833C: D3F30098 0E635532
	v_mfma_f32_16x16x32_fp8_fp8 v[152:155], a[52:53], v[172:173], v[152:155]// 000000008344: D3F30098 0E635934
	v_mfma_f32_16x16x32_fp8_fp8 v[152:155], a[54:55], v[174:175], v[152:155]// 00000000834C: D3F30098 0E635D36
	v_mfma_f32_16x16x32_fp8_fp8 v[152:155], a[56:57], v[176:177], v[152:155]// 000000008354: D3F30098 0E636138
	buffer_load_dwordx4 a[132:135], v39, s[92:95], 0 offen offset:1024// 00000000835C: E05C1400 80978427
	v_mfma_f32_16x16x32_fp8_fp8 v[152:155], a[58:59], v[178:179], v[152:155]// 000000008364: D3F30098 0E63653A
	v_mfma_f32_16x16x32_fp8_fp8 v[152:155], a[60:61], v[180:181], v[152:155]// 00000000836C: D3F30098 0E63693C
	v_mfma_f32_16x16x32_fp8_fp8 v[152:155], a[62:63], v[182:183], v[152:155]// 000000008374: D3F30098 0E636D3E
	v_mfma_f32_16x16x32_fp8_fp8 v[156:159], a[48:49], v[184:185], v[156:159]// 00000000837C: D3F3009C 0E737130
	buffer_load_dwordx4 a[136:139], v39, s[92:95], 0 offen offset:2048// 000000008384: E05C1800 80978827
	v_mfma_f32_16x16x32_fp8_fp8 v[156:159], a[50:51], v[186:187], v[156:159]// 00000000838C: D3F3009C 0E737532
	v_mfma_f32_16x16x32_fp8_fp8 v[156:159], a[52:53], v[188:189], v[156:159]// 000000008394: D3F3009C 0E737934
	v_mfma_f32_16x16x32_fp8_fp8 v[156:159], a[54:55], v[190:191], v[156:159]// 00000000839C: D3F3009C 0E737D36
	v_mfma_f32_16x16x32_fp8_fp8 v[156:159], a[56:57], v[192:193], v[156:159]// 0000000083A4: D3F3009C 0E738138
	buffer_load_dwordx4 a[140:143], v39, s[92:95], 0 offen offset:3072// 0000000083AC: E05C1C00 80978C27
	v_mfma_f32_16x16x32_fp8_fp8 v[156:159], a[58:59], v[194:195], v[156:159]// 0000000083B4: D3F3009C 0E73853A
	v_mfma_f32_16x16x32_fp8_fp8 v[156:159], a[60:61], v[196:197], v[156:159]// 0000000083BC: D3F3009C 0E73893C
	v_mfma_f32_16x16x32_fp8_fp8 v[156:159], a[62:63], v[198:199], v[156:159]// 0000000083C4: D3F3009C 0E738D3E
	s_waitcnt vmcnt(33)                                        // 0000000083CC: BF8C8F71
	v_mfma_f32_16x16x32_fp8_fp8 v[160:163], a[64:65], v[168:169], v[160:163]// 0000000083D0: D3F300A0 0E835140
	buffer_load_dwordx4 a[144:147], v40, s[92:95], 0 offen     // 0000000083D8: E05C1000 80979028
	v_mfma_f32_16x16x32_fp8_fp8 v[160:163], a[66:67], v[170:171], v[160:163]// 0000000083E0: D3F300A0 0E835542
	v_mfma_f32_16x16x32_fp8_fp8 v[160:163], a[68:69], v[172:173], v[160:163]// 0000000083E8: D3F300A0 0E835944
	v_mfma_f32_16x16x32_fp8_fp8 v[160:163], a[70:71], v[174:175], v[160:163]// 0000000083F0: D3F300A0 0E835D46
	v_mfma_f32_16x16x32_fp8_fp8 v[160:163], a[72:73], v[176:177], v[160:163]// 0000000083F8: D3F300A0 0E836148
	buffer_load_dwordx4 a[148:151], v40, s[92:95], 0 offen offset:1024// 000000008400: E05C1400 80979428
	v_mfma_f32_16x16x32_fp8_fp8 v[160:163], a[74:75], v[178:179], v[160:163]// 000000008408: D3F300A0 0E83654A
	v_mfma_f32_16x16x32_fp8_fp8 v[160:163], a[76:77], v[180:181], v[160:163]// 000000008410: D3F300A0 0E83694C
	v_mfma_f32_16x16x32_fp8_fp8 v[160:163], a[78:79], v[182:183], v[160:163]// 000000008418: D3F300A0 0E836D4E
	v_mfma_f32_16x16x32_fp8_fp8 v[164:167], a[64:65], v[184:185], v[164:167]// 000000008420: D3F300A4 0E937140
	buffer_load_dwordx4 a[152:155], v40, s[92:95], 0 offen offset:2048// 000000008428: E05C1800 80979828
	v_mfma_f32_16x16x32_fp8_fp8 v[164:167], a[66:67], v[186:187], v[164:167]// 000000008430: D3F300A4 0E937542
	v_mfma_f32_16x16x32_fp8_fp8 v[164:167], a[68:69], v[188:189], v[164:167]// 000000008438: D3F300A4 0E937944
	v_mfma_f32_16x16x32_fp8_fp8 v[164:167], a[70:71], v[190:191], v[164:167]// 000000008440: D3F300A4 0E937D46
	v_mfma_f32_16x16x32_fp8_fp8 v[164:167], a[72:73], v[192:193], v[164:167]// 000000008448: D3F300A4 0E938148
	buffer_load_dwordx4 a[156:159], v40, s[92:95], 0 offen offset:3072// 000000008450: E05C1C00 80979C28
	v_mfma_f32_16x16x32_fp8_fp8 v[164:167], a[74:75], v[194:195], v[164:167]// 000000008458: D3F300A4 0E93854A
	v_mfma_f32_16x16x32_fp8_fp8 v[164:167], a[76:77], v[196:197], v[164:167]// 000000008460: D3F300A4 0E93894C
	v_mfma_f32_16x16x32_fp8_fp8 v[164:167], a[78:79], v[198:199], v[164:167]// 000000008468: D3F300A4 0E938D4E
	v_mov_b32_e32 v42, v24                                     // 000000008470: 7E540318
	v_mov_b32_e32 v44, v25                                     // 000000008474: 7E580319
	v_mov_b32_e32 v43, v42                                     // 000000008478: 7E56032A
	v_mov_b32_e32 v45, v44                                     // 00000000847C: 7E5A032C
	v_pk_mul_f32 v[128:129], v[42:43], v[128:129]              // 000000008480: D3B14080 1803012A
	v_pk_mul_f32 v[130:131], v[42:43], v[130:131]              // 000000008488: D3B14082 1803052A
	v_pk_mul_f32 v[132:133], v[44:45], v[132:133]              // 000000008490: D3B14084 1803092C
	v_pk_mul_f32 v[134:135], v[44:45], v[134:135]              // 000000008498: D3B14086 18030D2C
	v_pk_mul_f32 v[136:137], v[42:43], v[136:137]              // 0000000084A0: D3B14088 1803112A
	v_pk_mul_f32 v[138:139], v[42:43], v[138:139]              // 0000000084A8: D3B1408A 1803152A
	v_pk_mul_f32 v[140:141], v[44:45], v[140:141]              // 0000000084B0: D3B1408C 1803192C
	v_pk_mul_f32 v[142:143], v[44:45], v[142:143]              // 0000000084B8: D3B1408E 18031D2C
	v_pk_mul_f32 v[144:145], v[42:43], v[144:145]              // 0000000084C0: D3B14090 1803212A
	v_pk_mul_f32 v[146:147], v[42:43], v[146:147]              // 0000000084C8: D3B14092 1803252A
	v_pk_mul_f32 v[148:149], v[44:45], v[148:149]              // 0000000084D0: D3B14094 1803292C
	v_pk_mul_f32 v[150:151], v[44:45], v[150:151]              // 0000000084D8: D3B14096 18032D2C
	v_pk_mul_f32 v[152:153], v[42:43], v[152:153]              // 0000000084E0: D3B14098 1803312A
	v_pk_mul_f32 v[154:155], v[42:43], v[154:155]              // 0000000084E8: D3B1409A 1803352A
	v_pk_mul_f32 v[156:157], v[44:45], v[156:157]              // 0000000084F0: D3B1409C 1803392C
	v_pk_mul_f32 v[158:159], v[44:45], v[158:159]              // 0000000084F8: D3B1409E 18033D2C
	v_pk_mul_f32 v[160:161], v[42:43], v[160:161]              // 000000008500: D3B140A0 1803412A
	v_pk_mul_f32 v[162:163], v[42:43], v[162:163]              // 000000008508: D3B140A2 1803452A
	v_pk_mul_f32 v[164:165], v[44:45], v[164:165]              // 000000008510: D3B140A4 1803492C
	v_pk_mul_f32 v[166:167], v[44:45], v[166:167]              // 000000008518: D3B140A6 18034D2C
	v_rcp_f32_e32 v42, v24                                     // 000000008520: 7E544518
	v_rcp_f32_e32 v44, v25                                     // 000000008524: 7E584519
	v_mov_b32_e32 v43, v42                                     // 000000008528: 7E56032A
	v_mov_b32_e32 v45, v44                                     // 00000000852C: 7E5A032C
	v_pk_mul_f32 v[64:65], v[42:43], v[64:65]                  // 000000008530: D3B14040 1802812A
	v_pk_mul_f32 v[66:67], v[42:43], v[66:67]                  // 000000008538: D3B14042 1802852A
	v_pk_mul_f32 v[68:69], v[44:45], v[68:69]                  // 000000008540: D3B14044 1802892C
	v_pk_mul_f32 v[70:71], v[44:45], v[70:71]                  // 000000008548: D3B14046 18028D2C
	v_pk_mul_f32 v[72:73], v[42:43], v[72:73]                  // 000000008550: D3B14048 1802912A
	v_pk_mul_f32 v[74:75], v[42:43], v[74:75]                  // 000000008558: D3B1404A 1802952A
	v_pk_mul_f32 v[76:77], v[44:45], v[76:77]                  // 000000008560: D3B1404C 1802992C
	v_pk_mul_f32 v[78:79], v[44:45], v[78:79]                  // 000000008568: D3B1404E 18029D2C
	v_pk_mul_f32 v[80:81], v[42:43], v[80:81]                  // 000000008570: D3B14050 1802A12A
	v_pk_mul_f32 v[82:83], v[42:43], v[82:83]                  // 000000008578: D3B14052 1802A52A
	v_pk_mul_f32 v[84:85], v[44:45], v[84:85]                  // 000000008580: D3B14054 1802A92C
	v_pk_mul_f32 v[86:87], v[44:45], v[86:87]                  // 000000008588: D3B14056 1802AD2C
	v_pk_mul_f32 v[88:89], v[42:43], v[88:89]                  // 000000008590: D3B14058 1802B12A
	v_pk_mul_f32 v[90:91], v[42:43], v[90:91]                  // 000000008598: D3B1405A 1802B52A
	v_pk_mul_f32 v[92:93], v[44:45], v[92:93]                  // 0000000085A0: D3B1405C 1802B92C
	v_pk_mul_f32 v[94:95], v[44:45], v[94:95]                  // 0000000085A8: D3B1405E 1802BD2C
	v_pk_mul_f32 v[96:97], v[42:43], v[96:97]                  // 0000000085B0: D3B14060 1802C12A
	v_pk_mul_f32 v[98:99], v[42:43], v[98:99]                  // 0000000085B8: D3B14062 1802C52A
	v_pk_mul_f32 v[100:101], v[44:45], v[100:101]              // 0000000085C0: D3B14064 1802C92C
	v_pk_mul_f32 v[102:103], v[44:45], v[102:103]              // 0000000085C8: D3B14066 1802CD2C
	s_waitcnt vmcnt(12)                                        // 0000000085D0: BF8C0F7C
	s_barrier                                                  // 0000000085D4: BF8A0000
	v_mfma_f32_16x16x32_fp8_fp8 v[64:67], a[80:81], v[168:169], v[64:67]// 0000000085D8: D3F30040 0D035150
	buffer_load_dwordx4 a[0:3], v36, s[24:27], 0 offen         // 0000000085E0: E05C1000 80860024
	v_mfma_f32_16x16x32_fp8_fp8 v[64:67], a[82:83], v[170:171], v[64:67]// 0000000085E8: D3F30040 0D035552
	ds_read_b64 v[200:201], v2 offset:18688                    // 0000000085F0: D8EC4900 C8000002
	ds_read_b64 v[204:205], v2 offset:27008                    // 0000000085F8: D8EC6980 CC000002
	v_mfma_f32_16x16x32_fp8_fp8 v[64:67], a[84:85], v[172:173], v[64:67]// 000000008600: D3F30040 0D035954
	v_mfma_f32_16x16x32_fp8_fp8 v[64:67], a[86:87], v[174:175], v[64:67]// 000000008608: D3F30040 0D035D56
	ds_read_b64 v[208:209], v2 offset:18816                    // 000000008610: D8EC4980 D0000002
	ds_read_b64 v[212:213], v2 offset:27136                    // 000000008618: D8EC6A00 D4000002
	v_mfma_f32_16x16x32_fp8_fp8 v[64:67], a[88:89], v[176:177], v[64:67]// 000000008620: D3F30040 0D036158
	buffer_load_dwordx4 a[4:7], v36, s[24:27], 0 offen offset:1024// 000000008628: E05C1400 80860424
	v_mfma_f32_16x16x32_fp8_fp8 v[64:67], a[90:91], v[178:179], v[64:67]// 000000008630: D3F30040 0D03655A
	ds_read_b64 v[216:217], v2 offset:18944                    // 000000008638: D8EC4A00 D8000002
	ds_read_b64 v[220:221], v2 offset:27264                    // 000000008640: D8EC6A80 DC000002
	v_mfma_f32_16x16x32_fp8_fp8 v[64:67], a[92:93], v[180:181], v[64:67]// 000000008648: D3F30040 0D03695C
	v_mfma_f32_16x16x32_fp8_fp8 v[64:67], a[94:95], v[182:183], v[64:67]// 000000008650: D3F30040 0D036D5E
	ds_read_b64 v[224:225], v2 offset:19072                    // 000000008658: D8EC4A80 E0000002
	ds_read_b64 v[228:229], v2 offset:27392                    // 000000008660: D8EC6B00 E4000002
	s_waitcnt lgkmcnt(4)                                       // 000000008668: BF8CC47F
	v_and_b32_e32 v203, 0xffff0000, v201                       // 00000000866C: 279792FF FFFF0000
	v_lshlrev_b32_e32 v202, 16, v201                           // 000000008674: 25959290
	v_and_b32_e32 v201, 0xffff0000, v200                       // 000000008678: 279390FF FFFF0000
	v_lshlrev_b32_e32 v200, 16, v200                           // 000000008680: 25919090
	v_and_b32_e32 v207, 0xffff0000, v205                       // 000000008684: 279F9AFF FFFF0000
	v_lshlrev_b32_e32 v206, 16, v205                           // 00000000868C: 259D9A90
	v_and_b32_e32 v205, 0xffff0000, v204                       // 000000008690: 279B98FF FFFF0000
	v_lshlrev_b32_e32 v204, 16, v204                           // 000000008698: 25999890
	v_and_b32_e32 v211, 0xffff0000, v209                       // 00000000869C: 27A7A2FF FFFF0000
	v_lshlrev_b32_e32 v210, 16, v209                           // 0000000086A4: 25A5A290
	v_and_b32_e32 v209, 0xffff0000, v208                       // 0000000086A8: 27A3A0FF FFFF0000
	v_lshlrev_b32_e32 v208, 16, v208                           // 0000000086B0: 25A1A090
	v_and_b32_e32 v215, 0xffff0000, v213                       // 0000000086B4: 27AFAAFF FFFF0000
	v_lshlrev_b32_e32 v214, 16, v213                           // 0000000086BC: 25ADAA90
	v_and_b32_e32 v213, 0xffff0000, v212                       // 0000000086C0: 27ABA8FF FFFF0000
	v_lshlrev_b32_e32 v212, 16, v212                           // 0000000086C8: 25A9A890
	v_mul_f32_dpp v200, v15, v200 row_newbcast:0 row_mask:0xf bank_mask:0xf// 0000000086CC: 0B9190FA FF01500F
	v_mul_f32_dpp v201, v15, v201 row_newbcast:1 row_mask:0xf bank_mask:0xf// 0000000086D4: 0B9392FA FF01510F
	v_mul_f32_dpp v202, v15, v202 row_newbcast:2 row_mask:0xf bank_mask:0xf// 0000000086DC: 0B9594FA FF01520F
	v_mul_f32_dpp v203, v15, v203 row_newbcast:3 row_mask:0xf bank_mask:0xf// 0000000086E4: 0B9796FA FF01530F
	v_mul_f32_dpp v204, v15, v204 row_newbcast:0 row_mask:0xf bank_mask:0xf// 0000000086EC: 0B9998FA FF01500F
	v_mul_f32_dpp v205, v15, v205 row_newbcast:1 row_mask:0xf bank_mask:0xf// 0000000086F4: 0B9B9AFA FF01510F
	v_mul_f32_dpp v206, v15, v206 row_newbcast:2 row_mask:0xf bank_mask:0xf// 0000000086FC: 0B9D9CFA FF01520F
	v_mul_f32_dpp v207, v15, v207 row_newbcast:3 row_mask:0xf bank_mask:0xf// 000000008704: 0B9F9EFA FF01530F
	v_mul_f32_dpp v208, v15, v208 row_newbcast:4 row_mask:0xf bank_mask:0xf// 00000000870C: 0BA1A0FA FF01540F
	v_mul_f32_dpp v209, v15, v209 row_newbcast:5 row_mask:0xf bank_mask:0xf// 000000008714: 0BA3A2FA FF01550F
	v_mul_f32_dpp v210, v15, v210 row_newbcast:6 row_mask:0xf bank_mask:0xf// 00000000871C: 0BA5A4FA FF01560F
	v_mul_f32_dpp v211, v15, v211 row_newbcast:7 row_mask:0xf bank_mask:0xf// 000000008724: 0BA7A6FA FF01570F
	v_mul_f32_dpp v212, v15, v212 row_newbcast:4 row_mask:0xf bank_mask:0xf// 00000000872C: 0BA9A8FA FF01540F
	v_mul_f32_dpp v213, v15, v213 row_newbcast:5 row_mask:0xf bank_mask:0xf// 000000008734: 0BABAAFA FF01550F
	v_mul_f32_dpp v214, v15, v214 row_newbcast:6 row_mask:0xf bank_mask:0xf// 00000000873C: 0BADACFA FF01560F
	v_mul_f32_dpp v215, v15, v215 row_newbcast:7 row_mask:0xf bank_mask:0xf// 000000008744: 0BAFAEFA FF01570F
	v_mfma_f32_16x16x32_fp8_fp8 v[68:71], a[80:81], v[184:185], v[68:71]// 00000000874C: D3F30044 0D137150
	buffer_load_dwordx4 a[8:11], v36, s[24:27], 0 offen offset:2048// 000000008754: E05C1800 80860824
	v_mfma_f32_16x16x32_fp8_fp8 v[68:71], a[82:83], v[186:187], v[68:71]// 00000000875C: D3F30044 0D137552
	v_mfma_f32_16x16x32_fp8_fp8 v[68:71], a[84:85], v[188:189], v[68:71]// 000000008764: D3F30044 0D137954
	v_mfma_f32_16x16x32_fp8_fp8 v[68:71], a[86:87], v[190:191], v[68:71]// 00000000876C: D3F30044 0D137D56
	v_mfma_f32_16x16x32_fp8_fp8 v[68:71], a[88:89], v[192:193], v[68:71]// 000000008774: D3F30044 0D138158
	buffer_load_dwordx4 a[12:15], v36, s[24:27], 0 offen offset:3072// 00000000877C: E05C1C00 80860C24
	v_mfma_f32_16x16x32_fp8_fp8 v[68:71], a[90:91], v[194:195], v[68:71]// 000000008784: D3F30044 0D13855A
	v_mfma_f32_16x16x32_fp8_fp8 v[68:71], a[92:93], v[196:197], v[68:71]// 00000000878C: D3F30044 0D13895C
	v_mfma_f32_16x16x32_fp8_fp8 v[68:71], a[94:95], v[198:199], v[68:71]// 000000008794: D3F30044 0D138D5E
	s_waitcnt lgkmcnt(0)                                       // 00000000879C: BF8CC07F
	v_and_b32_e32 v219, 0xffff0000, v217                       // 0000000087A0: 27B7B2FF FFFF0000
	v_lshlrev_b32_e32 v218, 16, v217                           // 0000000087A8: 25B5B290
	v_and_b32_e32 v217, 0xffff0000, v216                       // 0000000087AC: 27B3B0FF FFFF0000
	v_lshlrev_b32_e32 v216, 16, v216                           // 0000000087B4: 25B1B090
	v_and_b32_e32 v223, 0xffff0000, v221                       // 0000000087B8: 27BFBAFF FFFF0000
	v_lshlrev_b32_e32 v222, 16, v221                           // 0000000087C0: 25BDBA90
	v_and_b32_e32 v221, 0xffff0000, v220                       // 0000000087C4: 27BBB8FF FFFF0000
	v_lshlrev_b32_e32 v220, 16, v220                           // 0000000087CC: 25B9B890
	v_and_b32_e32 v227, 0xffff0000, v225                       // 0000000087D0: 27C7C2FF FFFF0000
	v_lshlrev_b32_e32 v226, 16, v225                           // 0000000087D8: 25C5C290
	v_and_b32_e32 v225, 0xffff0000, v224                       // 0000000087DC: 27C3C0FF FFFF0000
	v_lshlrev_b32_e32 v224, 16, v224                           // 0000000087E4: 25C1C090
	v_and_b32_e32 v231, 0xffff0000, v229                       // 0000000087E8: 27CFCAFF FFFF0000
	v_lshlrev_b32_e32 v230, 16, v229                           // 0000000087F0: 25CDCA90
	v_and_b32_e32 v229, 0xffff0000, v228                       // 0000000087F4: 27CBC8FF FFFF0000
	v_lshlrev_b32_e32 v228, 16, v228                           // 0000000087FC: 25C9C890
	v_mul_f32_dpp v216, v15, v216 row_newbcast:8 row_mask:0xf bank_mask:0xf// 000000008800: 0BB1B0FA FF01580F
	v_mul_f32_dpp v217, v15, v217 row_newbcast:9 row_mask:0xf bank_mask:0xf// 000000008808: 0BB3B2FA FF01590F
	v_mul_f32_dpp v218, v15, v218 row_newbcast:10 row_mask:0xf bank_mask:0xf// 000000008810: 0BB5B4FA FF015A0F
	v_mul_f32_dpp v219, v15, v219 row_newbcast:11 row_mask:0xf bank_mask:0xf// 000000008818: 0BB7B6FA FF015B0F
	v_mul_f32_dpp v220, v15, v220 row_newbcast:8 row_mask:0xf bank_mask:0xf// 000000008820: 0BB9B8FA FF01580F
	v_mul_f32_dpp v221, v15, v221 row_newbcast:9 row_mask:0xf bank_mask:0xf// 000000008828: 0BBBBAFA FF01590F
	v_mul_f32_dpp v222, v15, v222 row_newbcast:10 row_mask:0xf bank_mask:0xf// 000000008830: 0BBDBCFA FF015A0F
	v_mul_f32_dpp v223, v15, v223 row_newbcast:11 row_mask:0xf bank_mask:0xf// 000000008838: 0BBFBEFA FF015B0F
	v_mul_f32_dpp v224, v15, v224 row_newbcast:12 row_mask:0xf bank_mask:0xf// 000000008840: 0BC1C0FA FF015C0F
	v_mul_f32_dpp v225, v15, v225 row_newbcast:13 row_mask:0xf bank_mask:0xf// 000000008848: 0BC3C2FA FF015D0F
	v_mul_f32_dpp v226, v15, v226 row_newbcast:14 row_mask:0xf bank_mask:0xf// 000000008850: 0BC5C4FA FF015E0F
	v_mul_f32_dpp v227, v15, v227 row_newbcast:15 row_mask:0xf bank_mask:0xf// 000000008858: 0BC7C6FA FF015F0F
	v_mul_f32_dpp v228, v15, v228 row_newbcast:12 row_mask:0xf bank_mask:0xf// 000000008860: 0BC9C8FA FF015C0F
	v_mul_f32_dpp v229, v15, v229 row_newbcast:13 row_mask:0xf bank_mask:0xf// 000000008868: 0BCBCAFA FF015D0F
	v_mul_f32_dpp v230, v15, v230 row_newbcast:14 row_mask:0xf bank_mask:0xf// 000000008870: 0BCDCCFA FF015E0F
	v_mul_f32_dpp v231, v15, v231 row_newbcast:15 row_mask:0xf bank_mask:0xf// 000000008878: 0BCFCEFA FF015F0F
	v_mfma_f32_16x16x32_fp8_fp8 v[72:75], a[96:97], v[168:169], v[72:75]// 000000008880: D3F30048 0D235160
	buffer_load_dwordx4 a[16:19], v37, s[24:27], 0 offen       // 000000008888: E05C1000 80861025
	v_mfma_f32_16x16x32_fp8_fp8 v[72:75], a[98:99], v[170:171], v[72:75]// 000000008890: D3F30048 0D235562
	v_mov_b32_e32 v46, 0x358637bd                              // 000000008898: 7E5C02FF 358637BD
	v_mov_b32_e32 v47, 0x358637bd                              // 0000000088A0: 7E5E02FF 358637BD
	v_max3_f32 v46, |v200|, |v201|, v46                        // 0000000088A8: D1D3032E 04BB93C8
	v_max3_f32 v46, |v202|, |v203|, v46                        // 0000000088B0: D1D3032E 04BB97CA
	v_max3_f32 v47, |v204|, |v205|, v47                        // 0000000088B8: D1D3032F 04BF9BCC
	v_max3_f32 v47, |v206|, |v207|, v47                        // 0000000088C0: D1D3032F 04BF9FCE
	v_max3_f32 v46, |v208|, |v209|, v46                        // 0000000088C8: D1D3032E 04BBA3D0
	v_max3_f32 v46, |v210|, |v211|, v46                        // 0000000088D0: D1D3032E 04BBA7D2
	v_max3_f32 v47, |v212|, |v213|, v47                        // 0000000088D8: D1D3032F 04BFABD4
	v_max3_f32 v47, |v214|, |v215|, v47                        // 0000000088E0: D1D3032F 04BFAFD6
	v_max3_f32 v46, |v216|, |v217|, v46                        // 0000000088E8: D1D3032E 04BBB3D8
	v_max3_f32 v46, |v218|, |v219|, v46                        // 0000000088F0: D1D3032E 04BBB7DA
	v_max3_f32 v47, |v220|, |v221|, v47                        // 0000000088F8: D1D3032F 04BFBBDC
	v_max3_f32 v47, |v222|, |v223|, v47                        // 000000008900: D1D3032F 04BFBFDE
	v_max3_f32 v46, |v224|, |v225|, v46                        // 000000008908: D1D3032E 04BBC3E0
	v_max3_f32 v46, |v226|, |v227|, v46                        // 000000008910: D1D3032E 04BBC7E2
	v_max3_f32 v47, |v228|, |v229|, v47                        // 000000008918: D1D3032F 04BFCBE4
	v_max3_f32 v47, |v230|, |v231|, v47                        // 000000008920: D1D3032F 04BFCFE6
	v_mfma_f32_16x16x32_fp8_fp8 v[72:75], a[100:101], v[172:173], v[72:75]// 000000008928: D3F30048 0D235964
	v_mfma_f32_16x16x32_fp8_fp8 v[72:75], a[102:103], v[174:175], v[72:75]// 000000008930: D3F30048 0D235D66
	ds_write_b64 v3, v[46:47]                                  // 000000008938: D89A0000 00002E03
	v_mfma_f32_16x16x32_fp8_fp8 v[72:75], a[104:105], v[176:177], v[72:75]// 000000008940: D3F30048 0D236168
	buffer_load_dwordx4 a[20:23], v37, s[24:27], 0 offen offset:1024// 000000008948: E05C1400 80861425
	v_mfma_f32_16x16x32_fp8_fp8 v[72:75], a[106:107], v[178:179], v[72:75]// 000000008950: D3F30048 0D23656A
	s_waitcnt lgkmcnt(0)                                       // 000000008958: BF8CC07F
	s_barrier                                                  // 00000000895C: BF8A0000
	v_mfma_f32_16x16x32_fp8_fp8 v[72:75], a[108:109], v[180:181], v[72:75]// 000000008960: D3F30048 0D23696C
	v_mfma_f32_16x16x32_fp8_fp8 v[72:75], a[110:111], v[182:183], v[72:75]// 000000008968: D3F30048 0D236D6E
	ds_read_b64 v[46:47], v4                                   // 000000008970: D8EC0000 2E000004
	ds_read_b64 v[48:49], v4 offset:128                        // 000000008978: D8EC0080 30000004
	v_mfma_f32_16x16x32_fp8_fp8 v[76:79], a[96:97], v[184:185], v[76:79]// 000000008980: D3F3004C 0D337160
	buffer_load_dwordx4 a[24:27], v37, s[24:27], 0 offen offset:2048// 000000008988: E05C1800 80861825
	v_mfma_f32_16x16x32_fp8_fp8 v[76:79], a[98:99], v[186:187], v[76:79]// 000000008990: D3F3004C 0D337562
	ds_read_b64 v[50:51], v4 offset:256                        // 000000008998: D8EC0100 32000004
	ds_read_b64 v[52:53], v4 offset:384                        // 0000000089A0: D8EC0180 34000004
	v_mfma_f32_16x16x32_fp8_fp8 v[76:79], a[100:101], v[188:189], v[76:79]// 0000000089A8: D3F3004C 0D337964
	v_mfma_f32_16x16x32_fp8_fp8 v[76:79], a[102:103], v[190:191], v[76:79]// 0000000089B0: D3F3004C 0D337D66
	ds_read_b64 v[54:55], v4 offset:512                        // 0000000089B8: D8EC0200 36000004
	ds_read_b64 v[56:57], v4 offset:640                        // 0000000089C0: D8EC0280 38000004
	v_mfma_f32_16x16x32_fp8_fp8 v[76:79], a[104:105], v[192:193], v[76:79]// 0000000089C8: D3F3004C 0D338168
	buffer_load_dwordx4 a[28:31], v37, s[24:27], 0 offen offset:3072// 0000000089D0: E05C1C00 80861C25
	v_mfma_f32_16x16x32_fp8_fp8 v[76:79], a[106:107], v[194:195], v[76:79]// 0000000089D8: D3F3004C 0D33856A
	ds_read_b64 v[58:59], v4 offset:768                        // 0000000089E0: D8EC0300 3A000004
	ds_read_b64 v[60:61], v4 offset:896                        // 0000000089E8: D8EC0380 3C000004
	v_mfma_f32_16x16x32_fp8_fp8 v[76:79], a[108:109], v[196:197], v[76:79]// 0000000089F0: D3F3004C 0D33896C
	v_mfma_f32_16x16x32_fp8_fp8 v[76:79], a[110:111], v[198:199], v[76:79]// 0000000089F8: D3F3004C 0D338D6E
	s_waitcnt vmcnt(16)                                        // 000000008A00: BF8C4F70
	v_mfma_f32_16x16x32_fp8_fp8 v[80:83], a[112:113], v[168:169], v[80:83]// 000000008A04: D3F30050 0D435170
	buffer_load_dwordx4 a[32:35], v38, s[24:27], 0 offen       // 000000008A0C: E05C1000 80862026
	v_mfma_f32_16x16x32_fp8_fp8 v[80:83], a[114:115], v[170:171], v[80:83]// 000000008A14: D3F30050 0D435572
	s_waitcnt lgkmcnt(0)                                       // 000000008A1C: BF8CC07F
	v_mov_b32_e32 v22, 0x358637bd                              // 000000008A20: 7E2C02FF 358637BD
	v_mov_b32_e32 v23, 0x358637bd                              // 000000008A28: 7E2E02FF 358637BD
	v_max3_f32 v22, |v46|, |v48|, v22                          // 000000008A30: D1D30316 045A612E
	v_max3_f32 v23, |v47|, |v49|, v23                          // 000000008A38: D1D30317 045E632F
	v_max3_f32 v22, |v50|, |v52|, v22                          // 000000008A40: D1D30316 045A6932
	v_max3_f32 v23, |v51|, |v53|, v23                          // 000000008A48: D1D30317 045E6B33
	v_max3_f32 v22, |v54|, |v56|, v22                          // 000000008A50: D1D30316 045A7136
	v_max3_f32 v23, |v55|, |v57|, v23                          // 000000008A58: D1D30317 045E7337
	v_max3_f32 v22, |v58|, |v60|, v22                          // 000000008A60: D1D30316 045A793A
	v_max3_f32 v23, |v59|, |v61|, v23                          // 000000008A68: D1D30317 045E7B3B
	v_mfma_f32_16x16x32_fp8_fp8 v[80:83], a[116:117], v[172:173], v[80:83]// 000000008A70: D3F30050 0D435974
	v_mfma_f32_16x16x32_fp8_fp8 v[80:83], a[118:119], v[174:175], v[80:83]// 000000008A78: D3F30050 0D435D76
	ds_read_b64 v[46:47], v4 offset:1024                       // 000000008A80: D8EC0400 2E000004
	ds_read_b64 v[48:49], v4 offset:1152                       // 000000008A88: D8EC0480 30000004
	v_mfma_f32_16x16x32_fp8_fp8 v[80:83], a[120:121], v[176:177], v[80:83]// 000000008A90: D3F30050 0D436178
	buffer_load_dwordx4 a[36:39], v38, s[24:27], 0 offen offset:1024// 000000008A98: E05C1400 80862426
	v_mfma_f32_16x16x32_fp8_fp8 v[80:83], a[122:123], v[178:179], v[80:83]// 000000008AA0: D3F30050 0D43657A
	ds_read_b64 v[50:51], v4 offset:1280                       // 000000008AA8: D8EC0500 32000004
	ds_read_b64 v[52:53], v4 offset:1408                       // 000000008AB0: D8EC0580 34000004
	v_mfma_f32_16x16x32_fp8_fp8 v[80:83], a[124:125], v[180:181], v[80:83]// 000000008AB8: D3F30050 0D43697C
	v_mfma_f32_16x16x32_fp8_fp8 v[80:83], a[126:127], v[182:183], v[80:83]// 000000008AC0: D3F30050 0D436D7E
	ds_read_b64 v[54:55], v4 offset:1536                       // 000000008AC8: D8EC0600 36000004
	ds_read_b64 v[56:57], v4 offset:1664                       // 000000008AD0: D8EC0680 38000004
	v_mfma_f32_16x16x32_fp8_fp8 v[84:87], a[112:113], v[184:185], v[84:87]// 000000008AD8: D3F30054 0D537170
	buffer_load_dwordx4 a[40:43], v38, s[24:27], 0 offen offset:2048// 000000008AE0: E05C1800 80862826
	v_mfma_f32_16x16x32_fp8_fp8 v[84:87], a[114:115], v[186:187], v[84:87]// 000000008AE8: D3F30054 0D537572
	ds_read_b64 v[58:59], v4 offset:1792                       // 000000008AF0: D8EC0700 3A000004
	ds_read_b64 v[60:61], v4 offset:1920                       // 000000008AF8: D8EC0780 3C000004
	v_mfma_f32_16x16x32_fp8_fp8 v[84:87], a[116:117], v[188:189], v[84:87]// 000000008B00: D3F30054 0D537974
	v_mfma_f32_16x16x32_fp8_fp8 v[84:87], a[118:119], v[190:191], v[84:87]// 000000008B08: D3F30054 0D537D76
	v_mfma_f32_16x16x32_fp8_fp8 v[84:87], a[120:121], v[192:193], v[84:87]// 000000008B10: D3F30054 0D538178
	buffer_load_dwordx4 a[44:47], v38, s[24:27], 0 offen offset:3072// 000000008B18: E05C1C00 80862C26
	v_mfma_f32_16x16x32_fp8_fp8 v[84:87], a[122:123], v[194:195], v[84:87]// 000000008B20: D3F30054 0D53857A
	s_waitcnt lgkmcnt(0)                                       // 000000008B28: BF8CC07F
	v_max3_f32 v22, |v46|, |v48|, v22                          // 000000008B2C: D1D30316 045A612E
	v_max3_f32 v23, |v47|, |v49|, v23                          // 000000008B34: D1D30317 045E632F
	v_max3_f32 v22, |v50|, |v52|, v22                          // 000000008B3C: D1D30316 045A6932
	v_max3_f32 v23, |v51|, |v53|, v23                          // 000000008B44: D1D30317 045E6B33
	v_max3_f32 v22, |v54|, |v56|, v22                          // 000000008B4C: D1D30316 045A7136
	v_max3_f32 v23, |v55|, |v57|, v23                          // 000000008B54: D1D30317 045E7337
	v_max3_f32 v22, |v58|, |v60|, v22                          // 000000008B5C: D1D30316 045A793A
	v_max3_f32 v23, |v59|, |v61|, v23                          // 000000008B64: D1D30317 045E7B3B
	v_mov_b32_e32 v42, 0x43700000                              // 000000008B6C: 7E5402FF 43700000
	v_rcp_f32_e32 v22, v22                                     // 000000008B74: 7E2C4516
	v_rcp_f32_e32 v23, v23                                     // 000000008B78: 7E2E4517
	s_nop 1                                                    // 000000008B7C: BF800001
	v_mul_f32_e32 v22, v42, v22                                // 000000008B80: 0A2C2D2A
	v_mul_f32_e32 v23, v42, v23                                // 000000008B84: 0A2E2F2A
	v_rcp_f32_e32 v26, v22                                     // 000000008B88: 7E344516
	v_rcp_f32_e32 v27, v23                                     // 000000008B8C: 7E364517
	v_mov_b32_e32 v42, v22                                     // 000000008B90: 7E540316
	v_mov_b32_e32 v43, v22                                     // 000000008B94: 7E560316
	v_mov_b32_e32 v44, v23                                     // 000000008B98: 7E580317
	v_mov_b32_e32 v45, v23                                     // 000000008B9C: 7E5A0317
	v_pk_mul_f32 v[200:201], v[42:43], v[200:201]              // 000000008BA0: D3B140C8 1803912A
	v_pk_mul_f32 v[202:203], v[42:43], v[202:203]              // 000000008BA8: D3B140CA 1803952A
	v_cvt_pk_fp8_f32 v200, v200, v201                          // 000000008BB0: D2A200C8 000393C8
	v_cvt_pk_fp8_f32 v200, v202, v203 op_sel:[0,0,1]           // 000000008BB8: D2A240C8 000397CA
	v_pk_mul_f32 v[204:205], v[44:45], v[204:205]              // 000000008BC0: D3B140CC 1803992C
	v_pk_mul_f32 v[206:207], v[44:45], v[206:207]              // 000000008BC8: D3B140CE 18039D2C
	v_cvt_pk_fp8_f32 v201, v204, v205                          // 000000008BD0: D2A200C9 00039BCC
	v_cvt_pk_fp8_f32 v201, v206, v207 op_sel:[0,0,1]           // 000000008BD8: D2A240C9 00039FCE
	v_pk_mul_f32 v[208:209], v[42:43], v[208:209]              // 000000008BE0: D3B140D0 1803A12A
	v_pk_mul_f32 v[210:211], v[42:43], v[210:211]              // 000000008BE8: D3B140D2 1803A52A
	v_cvt_pk_fp8_f32 v202, v208, v209                          // 000000008BF0: D2A200CA 0003A3D0
	v_cvt_pk_fp8_f32 v202, v210, v211 op_sel:[0,0,1]           // 000000008BF8: D2A240CA 0003A7D2
	v_pk_mul_f32 v[212:213], v[44:45], v[212:213]              // 000000008C00: D3B140D4 1803A92C
	v_pk_mul_f32 v[214:215], v[44:45], v[214:215]              // 000000008C08: D3B140D6 1803AD2C
	v_cvt_pk_fp8_f32 v203, v212, v213                          // 000000008C10: D2A200CB 0003ABD4
	v_cvt_pk_fp8_f32 v203, v214, v215 op_sel:[0,0,1]           // 000000008C18: D2A240CB 0003AFD6
	v_pk_mul_f32 v[216:217], v[42:43], v[216:217]              // 000000008C20: D3B140D8 1803B12A
	v_pk_mul_f32 v[218:219], v[42:43], v[218:219]              // 000000008C28: D3B140DA 1803B52A
	v_cvt_pk_fp8_f32 v204, v216, v217                          // 000000008C30: D2A200CC 0003B3D8
	v_cvt_pk_fp8_f32 v204, v218, v219 op_sel:[0,0,1]           // 000000008C38: D2A240CC 0003B7DA
	v_pk_mul_f32 v[220:221], v[44:45], v[220:221]              // 000000008C40: D3B140DC 1803B92C
	v_pk_mul_f32 v[222:223], v[44:45], v[222:223]              // 000000008C48: D3B140DE 1803BD2C
	v_cvt_pk_fp8_f32 v205, v220, v221                          // 000000008C50: D2A200CD 0003BBDC
	v_cvt_pk_fp8_f32 v205, v222, v223 op_sel:[0,0,1]           // 000000008C58: D2A240CD 0003BFDE
	v_pk_mul_f32 v[224:225], v[42:43], v[224:225]              // 000000008C60: D3B140E0 1803C12A
	v_pk_mul_f32 v[226:227], v[42:43], v[226:227]              // 000000008C68: D3B140E2 1803C52A
	v_cvt_pk_fp8_f32 v206, v224, v225                          // 000000008C70: D2A200CE 0003C3E0
	v_cvt_pk_fp8_f32 v206, v226, v227 op_sel:[0,0,1]           // 000000008C78: D2A240CE 0003C7E2
	v_pk_mul_f32 v[228:229], v[44:45], v[228:229]              // 000000008C80: D3B140E4 1803C92C
	v_pk_mul_f32 v[230:231], v[44:45], v[230:231]              // 000000008C88: D3B140E6 1803CD2C
	v_cvt_pk_fp8_f32 v207, v228, v229                          // 000000008C90: D2A200CF 0003CBE4
	v_cvt_pk_fp8_f32 v207, v230, v231 op_sel:[0,0,1]           // 000000008C98: D2A240CF 0003CFE6
	v_mfma_f32_16x16x32_fp8_fp8 v[84:87], a[124:125], v[196:197], v[84:87]// 000000008CA0: D3F30054 0D53897C
	v_mfma_f32_16x16x32_fp8_fp8 v[84:87], a[126:127], v[198:199], v[84:87]// 000000008CA8: D3F30054 0D538D7E
	ds_write_b32 v12, v200 offset:2048                         // 000000008CB0: D81A0800 0000C80C
	ds_write_b32 v12, v201 offset:6144                         // 000000008CB8: D81A1800 0000C90C
	s_waitcnt vmcnt(16)                                        // 000000008CC0: BF8C4F70
	v_mfma_f32_16x16x32_fp8_fp8 v[88:91], a[128:129], v[168:169], v[88:91]// 000000008CC4: D3F30058 0D635180
	buffer_load_dwordx4 a[48:51], v39, s[24:27], 0 offen       // 000000008CCC: E05C1000 80863027
	v_mfma_f32_16x16x32_fp8_fp8 v[88:91], a[130:131], v[170:171], v[88:91]// 000000008CD4: D3F30058 0D635582
	ds_write_b32 v12, v202 offset:3072                         // 000000008CDC: D81A0C00 0000CA0C
	ds_write_b32 v12, v203 offset:7168                         // 000000008CE4: D81A1C00 0000CB0C
	v_mfma_f32_16x16x32_fp8_fp8 v[88:91], a[132:133], v[172:173], v[88:91]// 000000008CEC: D3F30058 0D635984
	v_mfma_f32_16x16x32_fp8_fp8 v[88:91], a[134:135], v[174:175], v[88:91]// 000000008CF4: D3F30058 0D635D86
	ds_write_b32 v12, v204 offset:4096                         // 000000008CFC: D81A1000 0000CC0C
	ds_write_b32 v12, v205 offset:8192                         // 000000008D04: D81A2000 0000CD0C
	v_mfma_f32_16x16x32_fp8_fp8 v[88:91], a[136:137], v[176:177], v[88:91]// 000000008D0C: D3F30058 0D636188
	buffer_load_dwordx4 a[52:55], v39, s[24:27], 0 offen offset:1024// 000000008D14: E05C1400 80863427
	v_mfma_f32_16x16x32_fp8_fp8 v[88:91], a[138:139], v[178:179], v[88:91]// 000000008D1C: D3F30058 0D63658A
	ds_write_b32 v12, v206 offset:5120                         // 000000008D24: D81A1400 0000CE0C
	ds_write_b32 v12, v207 offset:9216                         // 000000008D2C: D81A2400 0000CF0C
	v_mfma_f32_16x16x32_fp8_fp8 v[88:91], a[140:141], v[180:181], v[88:91]// 000000008D34: D3F30058 0D63698C
	v_mfma_f32_16x16x32_fp8_fp8 v[88:91], a[142:143], v[182:183], v[88:91]// 000000008D3C: D3F30058 0D636D8E
	v_mfma_f32_16x16x32_fp8_fp8 v[92:95], a[128:129], v[184:185], v[92:95]// 000000008D44: D3F3005C 0D737180
	buffer_load_dwordx4 a[56:59], v39, s[24:27], 0 offen offset:2048// 000000008D4C: E05C1800 80863827
	v_mfma_f32_16x16x32_fp8_fp8 v[92:95], a[130:131], v[186:187], v[92:95]// 000000008D54: D3F3005C 0D737582
	v_mfma_f32_16x16x32_fp8_fp8 v[92:95], a[132:133], v[188:189], v[92:95]// 000000008D5C: D3F3005C 0D737984
	v_mfma_f32_16x16x32_fp8_fp8 v[92:95], a[134:135], v[190:191], v[92:95]// 000000008D64: D3F3005C 0D737D86
	s_waitcnt lgkmcnt(0)                                       // 000000008D6C: BF8CC07F
	s_barrier                                                  // 000000008D70: BF8A0000
	v_mfma_f32_16x16x32_fp8_fp8 v[92:95], a[136:137], v[192:193], v[92:95]// 000000008D74: D3F3005C 0D738188
	buffer_load_dwordx4 a[60:63], v39, s[24:27], 0 offen offset:3072// 000000008D7C: E05C1C00 80863C27
	v_mfma_f32_16x16x32_fp8_fp8 v[92:95], a[138:139], v[194:195], v[92:95]// 000000008D84: D3F3005C 0D73858A
	ds_read_b64 v[200:201], v13 offset:2048                    // 000000008D8C: D8EC0800 C800000D
	ds_read_b64 v[202:203], v13 offset:2176                    // 000000008D94: D8EC0880 CA00000D
	v_mfma_f32_16x16x32_fp8_fp8 v[92:95], a[140:141], v[196:197], v[92:95]// 000000008D9C: D3F3005C 0D73898C
	v_mfma_f32_16x16x32_fp8_fp8 v[92:95], a[142:143], v[198:199], v[92:95]// 000000008DA4: D3F3005C 0D738D8E
	ds_read_b64 v[204:205], v13 offset:3072                    // 000000008DAC: D8EC0C00 CC00000D
	ds_read_b64 v[206:207], v13 offset:3200                    // 000000008DB4: D8EC0C80 CE00000D
	s_waitcnt vmcnt(16)                                        // 000000008DBC: BF8C4F70
	v_mfma_f32_16x16x32_fp8_fp8 v[96:99], a[144:145], v[168:169], v[96:99]// 000000008DC0: D3F30060 0D835190
	buffer_load_dwordx4 a[64:67], v40, s[24:27], 0 offen       // 000000008DC8: E05C1000 80864028
	v_mfma_f32_16x16x32_fp8_fp8 v[96:99], a[146:147], v[170:171], v[96:99]// 000000008DD0: D3F30060 0D835592
	ds_read_b64 v[208:209], v13 offset:4096                    // 000000008DD8: D8EC1000 D000000D
	ds_read_b64 v[210:211], v13 offset:4224                    // 000000008DE0: D8EC1080 D200000D
	v_mfma_f32_16x16x32_fp8_fp8 v[96:99], a[148:149], v[172:173], v[96:99]// 000000008DE8: D3F30060 0D835994
	v_mfma_f32_16x16x32_fp8_fp8 v[96:99], a[150:151], v[174:175], v[96:99]// 000000008DF0: D3F30060 0D835D96
	ds_read_b64 v[212:213], v13 offset:5120                    // 000000008DF8: D8EC1400 D400000D
	ds_read_b64 v[214:215], v13 offset:5248                    // 000000008E00: D8EC1480 D600000D
	v_mfma_f32_16x16x32_fp8_fp8 v[96:99], a[152:153], v[176:177], v[96:99]// 000000008E08: D3F30060 0D836198
	buffer_load_dwordx4 a[68:71], v40, s[24:27], 0 offen offset:1024// 000000008E10: E05C1400 80864428
	v_mfma_f32_16x16x32_fp8_fp8 v[96:99], a[154:155], v[178:179], v[96:99]// 000000008E18: D3F30060 0D83659A
	ds_read_b64 v[216:217], v13 offset:6144                    // 000000008E20: D8EC1800 D800000D
	ds_read_b64 v[218:219], v13 offset:6272                    // 000000008E28: D8EC1880 DA00000D
	v_mfma_f32_16x16x32_fp8_fp8 v[96:99], a[156:157], v[180:181], v[96:99]// 000000008E30: D3F30060 0D83699C
	v_mfma_f32_16x16x32_fp8_fp8 v[96:99], a[158:159], v[182:183], v[96:99]// 000000008E38: D3F30060 0D836D9E
	ds_read_b64 v[220:221], v13 offset:7168                    // 000000008E40: D8EC1C00 DC00000D
	ds_read_b64 v[222:223], v13 offset:7296                    // 000000008E48: D8EC1C80 DE00000D
	v_mfma_f32_16x16x32_fp8_fp8 v[100:103], a[144:145], v[184:185], v[100:103]// 000000008E50: D3F30064 0D937190
	buffer_load_dwordx4 a[72:75], v40, s[24:27], 0 offen offset:2048// 000000008E58: E05C1800 80864828
	v_mfma_f32_16x16x32_fp8_fp8 v[100:103], a[146:147], v[186:187], v[100:103]// 000000008E60: D3F30064 0D937592
	ds_read_b64 v[224:225], v13 offset:8192                    // 000000008E68: D8EC2000 E000000D
	ds_read_b64 v[226:227], v13 offset:8320                    // 000000008E70: D8EC2080 E200000D
	v_mfma_f32_16x16x32_fp8_fp8 v[100:103], a[148:149], v[188:189], v[100:103]// 000000008E78: D3F30064 0D937994
	v_mfma_f32_16x16x32_fp8_fp8 v[100:103], a[150:151], v[190:191], v[100:103]// 000000008E80: D3F30064 0D937D96
	ds_read_b64 v[228:229], v13 offset:9216                    // 000000008E88: D8EC2400 E400000D
	ds_read_b64 v[230:231], v13 offset:9344                    // 000000008E90: D8EC2480 E600000D
	v_mfma_f32_16x16x32_fp8_fp8 v[100:103], a[152:153], v[192:193], v[100:103]// 000000008E98: D3F30064 0D938198
	buffer_load_dwordx4 a[76:79], v40, s[24:27], 0 offen offset:3072// 000000008EA0: E05C1C00 80864C28
	v_mfma_f32_16x16x32_fp8_fp8 v[100:103], a[154:155], v[194:195], v[100:103]// 000000008EA8: D3F30064 0D93859A
	v_mfma_f32_16x16x32_fp8_fp8 v[100:103], a[156:157], v[196:197], v[100:103]// 000000008EB0: D3F30064 0D93899C
	v_mfma_f32_16x16x32_fp8_fp8 v[100:103], a[158:159], v[198:199], v[100:103]// 000000008EB8: D3F30064 0D938D9E
	s_add_u32 s60, 0x200, s80                                  // 000000008EC0: 803C50FF 00000200
	s_cmp_lt_u32 s60, s81                                      // 000000008EC8: BF0A513C
	s_cselect_b32 s57, s57, 0                                  // 000000008ECC: 85398039
	s_cselect_b32 s91, s91, 0                                  // 000000008ED0: 855B805B
	s_add_u32 s60, 0x200, s80                                  // 000000008ED4: 803C50FF 00000200
	s_cmp_lt_u32 s60, s81                                      // 000000008EDC: BF0A513C
	s_cselect_b32 s58, s58, 0                                  // 000000008EE0: 853A803A
	s_add_u32 s20, s57, s20                                    // 000000008EE4: 80141439
	s_addc_u32 s21, 0, s21                                     // 000000008EE8: 82151580
	s_add_u32 s28, s91, s28                                    // 000000008EEC: 801C1C5B
	s_addc_u32 s29, 0, s29                                     // 000000008EF0: 821D1D80
	s_add_u32 s24, s58, s24                                    // 000000008EF4: 8018183A
	s_addc_u32 s25, 0, s25                                     // 000000008EF8: 82191980
	s_add_u32 s92, s90, s92                                    // 000000008EFC: 805C5C5A
	s_addc_u32 s93, 0, s93                                     // 000000008F00: 825D5D80
	v_mov_b32_e32 v42, v24                                     // 000000008F04: 7E540318
	v_mov_b32_e32 v44, v25                                     // 000000008F08: 7E580319
	v_mov_b32_e32 v43, v42                                     // 000000008F0C: 7E56032A
	v_mov_b32_e32 v45, v44                                     // 000000008F10: 7E5A032C
	v_pk_mul_f32 v[64:65], v[42:43], v[64:65]                  // 000000008F14: D3B14040 1802812A
	v_pk_mul_f32 v[66:67], v[42:43], v[66:67]                  // 000000008F1C: D3B14042 1802852A
	v_pk_mul_f32 v[68:69], v[44:45], v[68:69]                  // 000000008F24: D3B14044 1802892C
	v_pk_mul_f32 v[70:71], v[44:45], v[70:71]                  // 000000008F2C: D3B14046 18028D2C
	v_pk_mul_f32 v[72:73], v[42:43], v[72:73]                  // 000000008F34: D3B14048 1802912A
	v_pk_mul_f32 v[74:75], v[42:43], v[74:75]                  // 000000008F3C: D3B1404A 1802952A
	v_pk_mul_f32 v[76:77], v[44:45], v[76:77]                  // 000000008F44: D3B1404C 1802992C
	v_pk_mul_f32 v[78:79], v[44:45], v[78:79]                  // 000000008F4C: D3B1404E 18029D2C
	v_pk_mul_f32 v[80:81], v[42:43], v[80:81]                  // 000000008F54: D3B14050 1802A12A
	v_pk_mul_f32 v[82:83], v[42:43], v[82:83]                  // 000000008F5C: D3B14052 1802A52A
	v_pk_mul_f32 v[84:85], v[44:45], v[84:85]                  // 000000008F64: D3B14054 1802A92C
	v_pk_mul_f32 v[86:87], v[44:45], v[86:87]                  // 000000008F6C: D3B14056 1802AD2C
	v_pk_mul_f32 v[88:89], v[42:43], v[88:89]                  // 000000008F74: D3B14058 1802B12A
	v_pk_mul_f32 v[90:91], v[42:43], v[90:91]                  // 000000008F7C: D3B1405A 1802B52A
	v_pk_mul_f32 v[92:93], v[44:45], v[92:93]                  // 000000008F84: D3B1405C 1802B92C
	v_pk_mul_f32 v[94:95], v[44:45], v[94:95]                  // 000000008F8C: D3B1405E 1802BD2C
	v_pk_mul_f32 v[96:97], v[42:43], v[96:97]                  // 000000008F94: D3B14060 1802C12A
	v_pk_mul_f32 v[98:99], v[42:43], v[98:99]                  // 000000008F9C: D3B14062 1802C52A
	v_pk_mul_f32 v[100:101], v[44:45], v[100:101]              // 000000008FA4: D3B14064 1802C92C
	v_pk_mul_f32 v[102:103], v[44:45], v[102:103]              // 000000008FAC: D3B14066 1802CD2C
	s_addk_i32 s80, 0x100                                      // 000000008FB4: B7500100
	s_cmp_lt_i32 s80, s81                                      // 000000008FB8: BF045150
	s_cbranch_scc0 label_1D2F                                  // 000000008FBC: BF8403FF
	v_rcp_f32_e32 v42, v26                                     // 000000008FC0: 7E54451A
	v_rcp_f32_e32 v44, v27                                     // 000000008FC4: 7E58451B
	v_mov_b32_e32 v43, v42                                     // 000000008FC8: 7E56032A
	v_mov_b32_e32 v45, v44                                     // 000000008FCC: 7E5A032C
	v_pk_mul_f32 v[128:129], v[42:43], v[128:129]              // 000000008FD0: D3B14080 1803012A
	v_pk_mul_f32 v[130:131], v[42:43], v[130:131]              // 000000008FD8: D3B14082 1803052A
	v_pk_mul_f32 v[132:133], v[44:45], v[132:133]              // 000000008FE0: D3B14084 1803092C
	v_pk_mul_f32 v[134:135], v[44:45], v[134:135]              // 000000008FE8: D3B14086 18030D2C
	v_pk_mul_f32 v[136:137], v[42:43], v[136:137]              // 000000008FF0: D3B14088 1803112A
	v_pk_mul_f32 v[138:139], v[42:43], v[138:139]              // 000000008FF8: D3B1408A 1803152A
	v_pk_mul_f32 v[140:141], v[44:45], v[140:141]              // 000000009000: D3B1408C 1803192C
	v_pk_mul_f32 v[142:143], v[44:45], v[142:143]              // 000000009008: D3B1408E 18031D2C
	v_pk_mul_f32 v[144:145], v[42:43], v[144:145]              // 000000009010: D3B14090 1803212A
	v_pk_mul_f32 v[146:147], v[42:43], v[146:147]              // 000000009018: D3B14092 1803252A
	v_pk_mul_f32 v[148:149], v[44:45], v[148:149]              // 000000009020: D3B14094 1803292C
	v_pk_mul_f32 v[150:151], v[44:45], v[150:151]              // 000000009028: D3B14096 18032D2C
	v_pk_mul_f32 v[152:153], v[42:43], v[152:153]              // 000000009030: D3B14098 1803312A
	v_pk_mul_f32 v[154:155], v[42:43], v[154:155]              // 000000009038: D3B1409A 1803352A
	v_pk_mul_f32 v[156:157], v[44:45], v[156:157]              // 000000009040: D3B1409C 1803392C
	v_pk_mul_f32 v[158:159], v[44:45], v[158:159]              // 000000009048: D3B1409E 18033D2C
	v_pk_mul_f32 v[160:161], v[42:43], v[160:161]              // 000000009050: D3B140A0 1803412A
	v_pk_mul_f32 v[162:163], v[42:43], v[162:163]              // 000000009058: D3B140A2 1803452A
	v_pk_mul_f32 v[164:165], v[44:45], v[164:165]              // 000000009060: D3B140A4 1803492C
	v_pk_mul_f32 v[166:167], v[44:45], v[166:167]              // 000000009068: D3B140A6 18034D2C
	s_waitcnt vmcnt(12) lgkmcnt(0)                             // 000000009070: BF8C007C
	s_barrier                                                  // 000000009074: BF8A0000
	v_mfma_f32_16x16x32_fp8_fp8 v[128:131], a[0:1], v[200:201], v[128:131]// 000000009078: D3F30080 0E039100
	buffer_load_dwordx4 a[80:83], v36, s[92:95], 0 offen       // 000000009080: E05C1000 80975024
	v_mfma_f32_16x16x32_fp8_fp8 v[128:131], a[2:3], v[202:203], v[128:131]// 000000009088: D3F30080 0E039502
	v_mfma_f32_16x16x32_fp8_fp8 v[128:131], a[4:5], v[204:205], v[128:131]// 000000009090: D3F30080 0E039904
	buffer_load_dword v28, s[20:23], 0 offen lds               // 000000009098: E0511000 8005001C
	buffer_load_dword v28, s[20:23], 0 offen offset:256 lds    // 0000000090A0: E0511100 8005001C
	s_add_u32 m0, 0x820, s50                                   // 0000000090A8: 807C32FF 00000820
	v_mfma_f32_16x16x32_fp8_fp8 v[128:131], a[6:7], v[206:207], v[128:131]// 0000000090B0: D3F30080 0E039D06
	v_mfma_f32_16x16x32_fp8_fp8 v[128:131], a[8:9], v[208:209], v[128:131]// 0000000090B8: D3F30080 0E03A108
	buffer_load_dwordx4 a[84:87], v36, s[92:95], 0 offen offset:1024// 0000000090C0: E05C1400 80975424
	v_mfma_f32_16x16x32_fp8_fp8 v[128:131], a[10:11], v[210:211], v[128:131]// 0000000090C8: D3F30080 0E03A50A
	v_mfma_f32_16x16x32_fp8_fp8 v[128:131], a[12:13], v[212:213], v[128:131]// 0000000090D0: D3F30080 0E03A90C
	buffer_load_dword v29, s[20:23], 0 offen lds               // 0000000090D8: E0511000 8005001D
	buffer_load_dword v29, s[20:23], 0 offen offset:256 lds    // 0000000090E0: E0511100 8005001D
	s_add_u32 m0, 0x1040, s50                                  // 0000000090E8: 807C32FF 00001040
	v_mfma_f32_16x16x32_fp8_fp8 v[128:131], a[14:15], v[214:215], v[128:131]// 0000000090F0: D3F30080 0E03AD0E
	v_mfma_f32_16x16x32_fp8_fp8 v[132:135], a[0:1], v[216:217], v[132:135]// 0000000090F8: D3F30084 0E13B100
	buffer_load_dwordx4 a[88:91], v36, s[92:95], 0 offen offset:2048// 000000009100: E05C1800 80975824
	v_mfma_f32_16x16x32_fp8_fp8 v[132:135], a[2:3], v[218:219], v[132:135]// 000000009108: D3F30084 0E13B502
	v_mfma_f32_16x16x32_fp8_fp8 v[132:135], a[4:5], v[220:221], v[132:135]// 000000009110: D3F30084 0E13B904
	buffer_load_dword v30, s[20:23], 0 offen lds               // 000000009118: E0511000 8005001E
	buffer_load_dword v30, s[20:23], 0 offen offset:256 lds    // 000000009120: E0511100 8005001E
	s_add_u32 m0, 0x1860, s50                                  // 000000009128: 807C32FF 00001860
	v_mfma_f32_16x16x32_fp8_fp8 v[132:135], a[6:7], v[222:223], v[132:135]// 000000009130: D3F30084 0E13BD06
	v_mfma_f32_16x16x32_fp8_fp8 v[132:135], a[8:9], v[224:225], v[132:135]// 000000009138: D3F30084 0E13C108
	buffer_load_dwordx4 a[92:95], v36, s[92:95], 0 offen offset:3072// 000000009140: E05C1C00 80975C24
	v_mfma_f32_16x16x32_fp8_fp8 v[132:135], a[10:11], v[226:227], v[132:135]// 000000009148: D3F30084 0E13C50A
	v_mfma_f32_16x16x32_fp8_fp8 v[132:135], a[12:13], v[228:229], v[132:135]// 000000009150: D3F30084 0E13C90C
	buffer_load_dword v31, s[20:23], 0 offen lds               // 000000009158: E0511000 8005001F
	buffer_load_dword v31, s[20:23], 0 offen offset:256 lds    // 000000009160: E0511100 8005001F
	s_add_u32 m0, 0x2080, s50                                  // 000000009168: 807C32FF 00002080
	v_mfma_f32_16x16x32_fp8_fp8 v[132:135], a[14:15], v[230:231], v[132:135]// 000000009170: D3F30084 0E13CD0E
	v_mfma_f32_16x16x32_fp8_fp8 v[136:139], a[16:17], v[200:201], v[136:139]// 000000009178: D3F30088 0E239110
	buffer_load_dwordx4 a[96:99], v37, s[92:95], 0 offen       // 000000009180: E05C1000 80976025
	v_mfma_f32_16x16x32_fp8_fp8 v[136:139], a[18:19], v[202:203], v[136:139]// 000000009188: D3F30088 0E239512
	v_mfma_f32_16x16x32_fp8_fp8 v[136:139], a[20:21], v[204:205], v[136:139]// 000000009190: D3F30088 0E239914
	buffer_load_dword v32, s[20:23], 0 offen lds               // 000000009198: E0511000 80050020
	buffer_load_dword v32, s[20:23], 0 offen offset:256 lds    // 0000000091A0: E0511100 80050020
	s_add_u32 m0, 0x28a0, s50                                  // 0000000091A8: 807C32FF 000028A0
	v_mfma_f32_16x16x32_fp8_fp8 v[136:139], a[22:23], v[206:207], v[136:139]// 0000000091B0: D3F30088 0E239D16
	v_mfma_f32_16x16x32_fp8_fp8 v[136:139], a[24:25], v[208:209], v[136:139]// 0000000091B8: D3F30088 0E23A118
	buffer_load_dwordx4 a[100:103], v37, s[92:95], 0 offen offset:1024// 0000000091C0: E05C1400 80976425
	v_mfma_f32_16x16x32_fp8_fp8 v[136:139], a[26:27], v[210:211], v[136:139]// 0000000091C8: D3F30088 0E23A51A
	v_mfma_f32_16x16x32_fp8_fp8 v[136:139], a[28:29], v[212:213], v[136:139]// 0000000091D0: D3F30088 0E23A91C
	buffer_load_dword v33, s[20:23], 0 offen lds               // 0000000091D8: E0511000 80050021
	buffer_load_dword v33, s[20:23], 0 offen offset:256 lds    // 0000000091E0: E0511100 80050021
	s_add_u32 m0, 0x30c0, s50                                  // 0000000091E8: 807C32FF 000030C0
	v_mfma_f32_16x16x32_fp8_fp8 v[136:139], a[30:31], v[214:215], v[136:139]// 0000000091F0: D3F30088 0E23AD1E
	v_mfma_f32_16x16x32_fp8_fp8 v[140:143], a[16:17], v[216:217], v[140:143]// 0000000091F8: D3F3008C 0E33B110
	buffer_load_dwordx4 a[104:107], v37, s[92:95], 0 offen offset:2048// 000000009200: E05C1800 80976825
	v_mfma_f32_16x16x32_fp8_fp8 v[140:143], a[18:19], v[218:219], v[140:143]// 000000009208: D3F3008C 0E33B512
	v_mfma_f32_16x16x32_fp8_fp8 v[140:143], a[20:21], v[220:221], v[140:143]// 000000009210: D3F3008C 0E33B914
	buffer_load_dword v34, s[20:23], 0 offen lds               // 000000009218: E0511000 80050022
	buffer_load_dword v34, s[20:23], 0 offen offset:256 lds    // 000000009220: E0511100 80050022
	s_add_u32 m0, 0x38e0, s50                                  // 000000009228: 807C32FF 000038E0
	v_mfma_f32_16x16x32_fp8_fp8 v[140:143], a[22:23], v[222:223], v[140:143]// 000000009230: D3F3008C 0E33BD16
	v_mfma_f32_16x16x32_fp8_fp8 v[140:143], a[24:25], v[224:225], v[140:143]// 000000009238: D3F3008C 0E33C118
	buffer_load_dwordx4 a[108:111], v37, s[92:95], 0 offen offset:3072// 000000009240: E05C1C00 80976C25
	v_mfma_f32_16x16x32_fp8_fp8 v[140:143], a[26:27], v[226:227], v[140:143]// 000000009248: D3F3008C 0E33C51A
	v_mfma_f32_16x16x32_fp8_fp8 v[140:143], a[28:29], v[228:229], v[140:143]// 000000009250: D3F3008C 0E33C91C
	buffer_load_dword v35, s[20:23], 0 offen lds               // 000000009258: E0511000 80050023
	buffer_load_dword v35, s[20:23], 0 offen offset:256 lds    // 000000009260: E0511100 80050023
	s_add_u32 m0, 0, s51                                       // 000000009268: 807C3380
	v_mfma_f32_16x16x32_fp8_fp8 v[140:143], a[30:31], v[230:231], v[140:143]// 00000000926C: D3F3008C 0E33CD1E
	buffer_load_dword v14, v6, s[28:31], 0 offen               // 000000009274: E0501000 80070E06
	s_waitcnt vmcnt(33)                                        // 00000000927C: BF8C8F71
	v_mfma_f32_16x16x32_fp8_fp8 v[144:147], a[32:33], v[200:201], v[144:147]// 000000009280: D3F30090 0E439120
	buffer_load_dwordx4 a[112:115], v38, s[92:95], 0 offen     // 000000009288: E05C1000 80977026
	v_mfma_f32_16x16x32_fp8_fp8 v[144:147], a[34:35], v[202:203], v[144:147]// 000000009290: D3F30090 0E439522
	v_mfma_f32_16x16x32_fp8_fp8 v[144:147], a[36:37], v[204:205], v[144:147]// 000000009298: D3F30090 0E439924
	v_mfma_f32_16x16x32_fp8_fp8 v[144:147], a[38:39], v[206:207], v[144:147]// 0000000092A0: D3F30090 0E439D26
	v_mfma_f32_16x16x32_fp8_fp8 v[144:147], a[40:41], v[208:209], v[144:147]// 0000000092A8: D3F30090 0E43A128
	buffer_load_dwordx4 a[116:119], v38, s[92:95], 0 offen offset:1024// 0000000092B0: E05C1400 80977426
	v_mfma_f32_16x16x32_fp8_fp8 v[144:147], a[42:43], v[210:211], v[144:147]// 0000000092B8: D3F30090 0E43A52A
	v_mfma_f32_16x16x32_fp8_fp8 v[144:147], a[44:45], v[212:213], v[144:147]// 0000000092C0: D3F30090 0E43A92C
	v_mfma_f32_16x16x32_fp8_fp8 v[144:147], a[46:47], v[214:215], v[144:147]// 0000000092C8: D3F30090 0E43AD2E
	v_mfma_f32_16x16x32_fp8_fp8 v[148:151], a[32:33], v[216:217], v[148:151]// 0000000092D0: D3F30094 0E53B120
	buffer_load_dwordx4 a[120:123], v38, s[92:95], 0 offen offset:2048// 0000000092D8: E05C1800 80977826
	v_mfma_f32_16x16x32_fp8_fp8 v[148:151], a[34:35], v[218:219], v[148:151]// 0000000092E0: D3F30094 0E53B522
	v_mfma_f32_16x16x32_fp8_fp8 v[148:151], a[36:37], v[220:221], v[148:151]// 0000000092E8: D3F30094 0E53B924
	v_mfma_f32_16x16x32_fp8_fp8 v[148:151], a[38:39], v[222:223], v[148:151]// 0000000092F0: D3F30094 0E53BD26
	v_mfma_f32_16x16x32_fp8_fp8 v[148:151], a[40:41], v[224:225], v[148:151]// 0000000092F8: D3F30094 0E53C128
	buffer_load_dwordx4 a[124:127], v38, s[92:95], 0 offen offset:3072// 000000009300: E05C1C00 80977C26
	v_mfma_f32_16x16x32_fp8_fp8 v[148:151], a[42:43], v[226:227], v[148:151]// 000000009308: D3F30094 0E53C52A
	v_mfma_f32_16x16x32_fp8_fp8 v[148:151], a[44:45], v[228:229], v[148:151]// 000000009310: D3F30094 0E53C92C
	v_mfma_f32_16x16x32_fp8_fp8 v[148:151], a[46:47], v[230:231], v[148:151]// 000000009318: D3F30094 0E53CD2E
	s_waitcnt vmcnt(33)                                        // 000000009320: BF8C8F71
	v_mfma_f32_16x16x32_fp8_fp8 v[152:155], a[48:49], v[200:201], v[152:155]// 000000009324: D3F30098 0E639130
	buffer_load_dwordx4 a[128:131], v39, s[92:95], 0 offen     // 00000000932C: E05C1000 80978027
	v_mfma_f32_16x16x32_fp8_fp8 v[152:155], a[50:51], v[202:203], v[152:155]// 000000009334: D3F30098 0E639532
	v_mfma_f32_16x16x32_fp8_fp8 v[152:155], a[52:53], v[204:205], v[152:155]// 00000000933C: D3F30098 0E639934
	v_mfma_f32_16x16x32_fp8_fp8 v[152:155], a[54:55], v[206:207], v[152:155]// 000000009344: D3F30098 0E639D36
	v_mfma_f32_16x16x32_fp8_fp8 v[152:155], a[56:57], v[208:209], v[152:155]// 00000000934C: D3F30098 0E63A138
	buffer_load_dwordx4 a[132:135], v39, s[92:95], 0 offen offset:1024// 000000009354: E05C1400 80978427
	v_mfma_f32_16x16x32_fp8_fp8 v[152:155], a[58:59], v[210:211], v[152:155]// 00000000935C: D3F30098 0E63A53A
	v_mfma_f32_16x16x32_fp8_fp8 v[152:155], a[60:61], v[212:213], v[152:155]// 000000009364: D3F30098 0E63A93C
	v_mfma_f32_16x16x32_fp8_fp8 v[152:155], a[62:63], v[214:215], v[152:155]// 00000000936C: D3F30098 0E63AD3E
	v_mfma_f32_16x16x32_fp8_fp8 v[156:159], a[48:49], v[216:217], v[156:159]// 000000009374: D3F3009C 0E73B130
	buffer_load_dwordx4 a[136:139], v39, s[92:95], 0 offen offset:2048// 00000000937C: E05C1800 80978827
	v_mfma_f32_16x16x32_fp8_fp8 v[156:159], a[50:51], v[218:219], v[156:159]// 000000009384: D3F3009C 0E73B532
	v_mfma_f32_16x16x32_fp8_fp8 v[156:159], a[52:53], v[220:221], v[156:159]// 00000000938C: D3F3009C 0E73B934
	v_mfma_f32_16x16x32_fp8_fp8 v[156:159], a[54:55], v[222:223], v[156:159]// 000000009394: D3F3009C 0E73BD36
	v_mfma_f32_16x16x32_fp8_fp8 v[156:159], a[56:57], v[224:225], v[156:159]// 00000000939C: D3F3009C 0E73C138
	buffer_load_dwordx4 a[140:143], v39, s[92:95], 0 offen offset:3072// 0000000093A4: E05C1C00 80978C27
	v_mfma_f32_16x16x32_fp8_fp8 v[156:159], a[58:59], v[226:227], v[156:159]// 0000000093AC: D3F3009C 0E73C53A
	v_mfma_f32_16x16x32_fp8_fp8 v[156:159], a[60:61], v[228:229], v[156:159]// 0000000093B4: D3F3009C 0E73C93C
	v_mfma_f32_16x16x32_fp8_fp8 v[156:159], a[62:63], v[230:231], v[156:159]// 0000000093BC: D3F3009C 0E73CD3E
	s_waitcnt vmcnt(33)                                        // 0000000093C4: BF8C8F71
	v_mfma_f32_16x16x32_fp8_fp8 v[160:163], a[64:65], v[200:201], v[160:163]// 0000000093C8: D3F300A0 0E839140
	buffer_load_dwordx4 a[144:147], v40, s[92:95], 0 offen     // 0000000093D0: E05C1000 80979028
	v_mfma_f32_16x16x32_fp8_fp8 v[160:163], a[66:67], v[202:203], v[160:163]// 0000000093D8: D3F300A0 0E839542
	v_mfma_f32_16x16x32_fp8_fp8 v[160:163], a[68:69], v[204:205], v[160:163]// 0000000093E0: D3F300A0 0E839944
	v_mfma_f32_16x16x32_fp8_fp8 v[160:163], a[70:71], v[206:207], v[160:163]// 0000000093E8: D3F300A0 0E839D46
	v_mfma_f32_16x16x32_fp8_fp8 v[160:163], a[72:73], v[208:209], v[160:163]// 0000000093F0: D3F300A0 0E83A148
	buffer_load_dwordx4 a[148:151], v40, s[92:95], 0 offen offset:1024// 0000000093F8: E05C1400 80979428
	v_mfma_f32_16x16x32_fp8_fp8 v[160:163], a[74:75], v[210:211], v[160:163]// 000000009400: D3F300A0 0E83A54A
	v_mfma_f32_16x16x32_fp8_fp8 v[160:163], a[76:77], v[212:213], v[160:163]// 000000009408: D3F300A0 0E83A94C
	v_mfma_f32_16x16x32_fp8_fp8 v[160:163], a[78:79], v[214:215], v[160:163]// 000000009410: D3F300A0 0E83AD4E
	v_mfma_f32_16x16x32_fp8_fp8 v[164:167], a[64:65], v[216:217], v[164:167]// 000000009418: D3F300A4 0E93B140
	buffer_load_dwordx4 a[152:155], v40, s[92:95], 0 offen offset:2048// 000000009420: E05C1800 80979828
	v_mfma_f32_16x16x32_fp8_fp8 v[164:167], a[66:67], v[218:219], v[164:167]// 000000009428: D3F300A4 0E93B542
	v_mfma_f32_16x16x32_fp8_fp8 v[164:167], a[68:69], v[220:221], v[164:167]// 000000009430: D3F300A4 0E93B944
	v_mfma_f32_16x16x32_fp8_fp8 v[164:167], a[70:71], v[222:223], v[164:167]// 000000009438: D3F300A4 0E93BD46
	v_mfma_f32_16x16x32_fp8_fp8 v[164:167], a[72:73], v[224:225], v[164:167]// 000000009440: D3F300A4 0E93C148
	buffer_load_dwordx4 a[156:159], v40, s[92:95], 0 offen offset:3072// 000000009448: E05C1C00 80979C28
	v_mfma_f32_16x16x32_fp8_fp8 v[164:167], a[74:75], v[226:227], v[164:167]// 000000009450: D3F300A4 0E93C54A
	v_mfma_f32_16x16x32_fp8_fp8 v[164:167], a[76:77], v[228:229], v[164:167]// 000000009458: D3F300A4 0E93C94C
	v_mfma_f32_16x16x32_fp8_fp8 v[164:167], a[78:79], v[230:231], v[164:167]// 000000009460: D3F300A4 0E93CD4E
	v_mov_b32_e32 v42, v26                                     // 000000009468: 7E54031A
	v_mov_b32_e32 v44, v27                                     // 00000000946C: 7E58031B
	v_mov_b32_e32 v43, v42                                     // 000000009470: 7E56032A
	v_mov_b32_e32 v45, v44                                     // 000000009474: 7E5A032C
	v_pk_mul_f32 v[128:129], v[42:43], v[128:129]              // 000000009478: D3B14080 1803012A
	v_pk_mul_f32 v[130:131], v[42:43], v[130:131]              // 000000009480: D3B14082 1803052A
	v_pk_mul_f32 v[132:133], v[44:45], v[132:133]              // 000000009488: D3B14084 1803092C
	v_pk_mul_f32 v[134:135], v[44:45], v[134:135]              // 000000009490: D3B14086 18030D2C
	v_pk_mul_f32 v[136:137], v[42:43], v[136:137]              // 000000009498: D3B14088 1803112A
	v_pk_mul_f32 v[138:139], v[42:43], v[138:139]              // 0000000094A0: D3B1408A 1803152A
	v_pk_mul_f32 v[140:141], v[44:45], v[140:141]              // 0000000094A8: D3B1408C 1803192C
	v_pk_mul_f32 v[142:143], v[44:45], v[142:143]              // 0000000094B0: D3B1408E 18031D2C
	v_pk_mul_f32 v[144:145], v[42:43], v[144:145]              // 0000000094B8: D3B14090 1803212A
	v_pk_mul_f32 v[146:147], v[42:43], v[146:147]              // 0000000094C0: D3B14092 1803252A
	v_pk_mul_f32 v[148:149], v[44:45], v[148:149]              // 0000000094C8: D3B14094 1803292C
	v_pk_mul_f32 v[150:151], v[44:45], v[150:151]              // 0000000094D0: D3B14096 18032D2C
	v_pk_mul_f32 v[152:153], v[42:43], v[152:153]              // 0000000094D8: D3B14098 1803312A
	v_pk_mul_f32 v[154:155], v[42:43], v[154:155]              // 0000000094E0: D3B1409A 1803352A
	v_pk_mul_f32 v[156:157], v[44:45], v[156:157]              // 0000000094E8: D3B1409C 1803392C
	v_pk_mul_f32 v[158:159], v[44:45], v[158:159]              // 0000000094F0: D3B1409E 18033D2C
	v_pk_mul_f32 v[160:161], v[42:43], v[160:161]              // 0000000094F8: D3B140A0 1803412A
	v_pk_mul_f32 v[162:163], v[42:43], v[162:163]              // 000000009500: D3B140A2 1803452A
	v_pk_mul_f32 v[164:165], v[44:45], v[164:165]              // 000000009508: D3B140A4 1803492C
	v_pk_mul_f32 v[166:167], v[44:45], v[166:167]              // 000000009510: D3B140A6 18034D2C
	v_rcp_f32_e32 v42, v26                                     // 000000009518: 7E54451A
	v_rcp_f32_e32 v44, v27                                     // 00000000951C: 7E58451B
	v_mov_b32_e32 v43, v42                                     // 000000009520: 7E56032A
	v_mov_b32_e32 v45, v44                                     // 000000009524: 7E5A032C
	v_pk_mul_f32 v[64:65], v[42:43], v[64:65]                  // 000000009528: D3B14040 1802812A
	v_pk_mul_f32 v[66:67], v[42:43], v[66:67]                  // 000000009530: D3B14042 1802852A
	v_pk_mul_f32 v[68:69], v[44:45], v[68:69]                  // 000000009538: D3B14044 1802892C
	v_pk_mul_f32 v[70:71], v[44:45], v[70:71]                  // 000000009540: D3B14046 18028D2C
	v_pk_mul_f32 v[72:73], v[42:43], v[72:73]                  // 000000009548: D3B14048 1802912A
	v_pk_mul_f32 v[74:75], v[42:43], v[74:75]                  // 000000009550: D3B1404A 1802952A
	v_pk_mul_f32 v[76:77], v[44:45], v[76:77]                  // 000000009558: D3B1404C 1802992C
	v_pk_mul_f32 v[78:79], v[44:45], v[78:79]                  // 000000009560: D3B1404E 18029D2C
	v_pk_mul_f32 v[80:81], v[42:43], v[80:81]                  // 000000009568: D3B14050 1802A12A
	v_pk_mul_f32 v[82:83], v[42:43], v[82:83]                  // 000000009570: D3B14052 1802A52A
	v_pk_mul_f32 v[84:85], v[44:45], v[84:85]                  // 000000009578: D3B14054 1802A92C
	v_pk_mul_f32 v[86:87], v[44:45], v[86:87]                  // 000000009580: D3B14056 1802AD2C
	v_pk_mul_f32 v[88:89], v[42:43], v[88:89]                  // 000000009588: D3B14058 1802B12A
	v_pk_mul_f32 v[90:91], v[42:43], v[90:91]                  // 000000009590: D3B1405A 1802B52A
	v_pk_mul_f32 v[92:93], v[44:45], v[92:93]                  // 000000009598: D3B1405C 1802B92C
	v_pk_mul_f32 v[94:95], v[44:45], v[94:95]                  // 0000000095A0: D3B1405E 1802BD2C
	v_pk_mul_f32 v[96:97], v[42:43], v[96:97]                  // 0000000095A8: D3B14060 1802C12A
	v_pk_mul_f32 v[98:99], v[42:43], v[98:99]                  // 0000000095B0: D3B14062 1802C52A
	v_pk_mul_f32 v[100:101], v[44:45], v[100:101]              // 0000000095B8: D3B14064 1802C92C
	v_pk_mul_f32 v[102:103], v[44:45], v[102:103]              // 0000000095C0: D3B14066 1802CD2C
	s_waitcnt vmcnt(12)                                        // 0000000095C8: BF8C0F7C
	s_barrier                                                  // 0000000095CC: BF8A0000
	v_mfma_f32_16x16x32_fp8_fp8 v[64:67], a[80:81], v[200:201], v[64:67]// 0000000095D0: D3F30040 0D039150
	buffer_load_dwordx4 a[0:3], v36, s[24:27], 0 offen         // 0000000095D8: E05C1000 80860024
	v_mfma_f32_16x16x32_fp8_fp8 v[64:67], a[82:83], v[202:203], v[64:67]// 0000000095E0: D3F30040 0D039552
	ds_read_b64 v[168:169], v2 offset:2048                     // 0000000095E8: D8EC0800 A8000002
	ds_read_b64 v[172:173], v2 offset:10368                    // 0000000095F0: D8EC2880 AC000002
	v_mfma_f32_16x16x32_fp8_fp8 v[64:67], a[84:85], v[204:205], v[64:67]// 0000000095F8: D3F30040 0D039954
	v_mfma_f32_16x16x32_fp8_fp8 v[64:67], a[86:87], v[206:207], v[64:67]// 000000009600: D3F30040 0D039D56
	ds_read_b64 v[176:177], v2 offset:2176                     // 000000009608: D8EC0880 B0000002
	ds_read_b64 v[180:181], v2 offset:10496                    // 000000009610: D8EC2900 B4000002
	v_mfma_f32_16x16x32_fp8_fp8 v[64:67], a[88:89], v[208:209], v[64:67]// 000000009618: D3F30040 0D03A158
	buffer_load_dwordx4 a[4:7], v36, s[24:27], 0 offen offset:1024// 000000009620: E05C1400 80860424
	v_mfma_f32_16x16x32_fp8_fp8 v[64:67], a[90:91], v[210:211], v[64:67]// 000000009628: D3F30040 0D03A55A
	ds_read_b64 v[184:185], v2 offset:2304                     // 000000009630: D8EC0900 B8000002
	ds_read_b64 v[188:189], v2 offset:10624                    // 000000009638: D8EC2980 BC000002
	v_mfma_f32_16x16x32_fp8_fp8 v[64:67], a[92:93], v[212:213], v[64:67]// 000000009640: D3F30040 0D03A95C
	v_mfma_f32_16x16x32_fp8_fp8 v[64:67], a[94:95], v[214:215], v[64:67]// 000000009648: D3F30040 0D03AD5E
	ds_read_b64 v[192:193], v2 offset:2432                     // 000000009650: D8EC0980 C0000002
	ds_read_b64 v[196:197], v2 offset:10752                    // 000000009658: D8EC2A00 C4000002
	s_waitcnt lgkmcnt(4)                                       // 000000009660: BF8CC47F
	v_and_b32_e32 v171, 0xffff0000, v169                       // 000000009664: 275752FF FFFF0000
	v_lshlrev_b32_e32 v170, 16, v169                           // 00000000966C: 25555290
	v_and_b32_e32 v169, 0xffff0000, v168                       // 000000009670: 275350FF FFFF0000
	v_lshlrev_b32_e32 v168, 16, v168                           // 000000009678: 25515090
	v_and_b32_e32 v175, 0xffff0000, v173                       // 00000000967C: 275F5AFF FFFF0000
	v_lshlrev_b32_e32 v174, 16, v173                           // 000000009684: 255D5A90
	v_and_b32_e32 v173, 0xffff0000, v172                       // 000000009688: 275B58FF FFFF0000
	v_lshlrev_b32_e32 v172, 16, v172                           // 000000009690: 25595890
	v_and_b32_e32 v179, 0xffff0000, v177                       // 000000009694: 276762FF FFFF0000
	v_lshlrev_b32_e32 v178, 16, v177                           // 00000000969C: 25656290
	v_and_b32_e32 v177, 0xffff0000, v176                       // 0000000096A0: 276360FF FFFF0000
	v_lshlrev_b32_e32 v176, 16, v176                           // 0000000096A8: 25616090
	v_and_b32_e32 v183, 0xffff0000, v181                       // 0000000096AC: 276F6AFF FFFF0000
	v_lshlrev_b32_e32 v182, 16, v181                           // 0000000096B4: 256D6A90
	v_and_b32_e32 v181, 0xffff0000, v180                       // 0000000096B8: 276B68FF FFFF0000
	v_lshlrev_b32_e32 v180, 16, v180                           // 0000000096C0: 25696890
	v_mul_f32_dpp v168, v14, v168 row_newbcast:0 row_mask:0xf bank_mask:0xf// 0000000096C4: 0B5150FA FF01500E
	v_mul_f32_dpp v169, v14, v169 row_newbcast:1 row_mask:0xf bank_mask:0xf// 0000000096CC: 0B5352FA FF01510E
	v_mul_f32_dpp v170, v14, v170 row_newbcast:2 row_mask:0xf bank_mask:0xf// 0000000096D4: 0B5554FA FF01520E
	v_mul_f32_dpp v171, v14, v171 row_newbcast:3 row_mask:0xf bank_mask:0xf// 0000000096DC: 0B5756FA FF01530E
	v_mul_f32_dpp v172, v14, v172 row_newbcast:0 row_mask:0xf bank_mask:0xf// 0000000096E4: 0B5958FA FF01500E
	v_mul_f32_dpp v173, v14, v173 row_newbcast:1 row_mask:0xf bank_mask:0xf// 0000000096EC: 0B5B5AFA FF01510E
	v_mul_f32_dpp v174, v14, v174 row_newbcast:2 row_mask:0xf bank_mask:0xf// 0000000096F4: 0B5D5CFA FF01520E
	v_mul_f32_dpp v175, v14, v175 row_newbcast:3 row_mask:0xf bank_mask:0xf// 0000000096FC: 0B5F5EFA FF01530E
	v_mul_f32_dpp v176, v14, v176 row_newbcast:4 row_mask:0xf bank_mask:0xf// 000000009704: 0B6160FA FF01540E
	v_mul_f32_dpp v177, v14, v177 row_newbcast:5 row_mask:0xf bank_mask:0xf// 00000000970C: 0B6362FA FF01550E
	v_mul_f32_dpp v178, v14, v178 row_newbcast:6 row_mask:0xf bank_mask:0xf// 000000009714: 0B6564FA FF01560E
	v_mul_f32_dpp v179, v14, v179 row_newbcast:7 row_mask:0xf bank_mask:0xf// 00000000971C: 0B6766FA FF01570E
	v_mul_f32_dpp v180, v14, v180 row_newbcast:4 row_mask:0xf bank_mask:0xf// 000000009724: 0B6968FA FF01540E
	v_mul_f32_dpp v181, v14, v181 row_newbcast:5 row_mask:0xf bank_mask:0xf// 00000000972C: 0B6B6AFA FF01550E
	v_mul_f32_dpp v182, v14, v182 row_newbcast:6 row_mask:0xf bank_mask:0xf// 000000009734: 0B6D6CFA FF01560E
	v_mul_f32_dpp v183, v14, v183 row_newbcast:7 row_mask:0xf bank_mask:0xf// 00000000973C: 0B6F6EFA FF01570E
	v_mfma_f32_16x16x32_fp8_fp8 v[68:71], a[80:81], v[216:217], v[68:71]// 000000009744: D3F30044 0D13B150
	buffer_load_dwordx4 a[8:11], v36, s[24:27], 0 offen offset:2048// 00000000974C: E05C1800 80860824
	v_mfma_f32_16x16x32_fp8_fp8 v[68:71], a[82:83], v[218:219], v[68:71]// 000000009754: D3F30044 0D13B552
	v_mfma_f32_16x16x32_fp8_fp8 v[68:71], a[84:85], v[220:221], v[68:71]// 00000000975C: D3F30044 0D13B954
	v_mfma_f32_16x16x32_fp8_fp8 v[68:71], a[86:87], v[222:223], v[68:71]// 000000009764: D3F30044 0D13BD56
	v_mfma_f32_16x16x32_fp8_fp8 v[68:71], a[88:89], v[224:225], v[68:71]// 00000000976C: D3F30044 0D13C158
	buffer_load_dwordx4 a[12:15], v36, s[24:27], 0 offen offset:3072// 000000009774: E05C1C00 80860C24
	v_mfma_f32_16x16x32_fp8_fp8 v[68:71], a[90:91], v[226:227], v[68:71]// 00000000977C: D3F30044 0D13C55A
	v_mfma_f32_16x16x32_fp8_fp8 v[68:71], a[92:93], v[228:229], v[68:71]// 000000009784: D3F30044 0D13C95C
	v_mfma_f32_16x16x32_fp8_fp8 v[68:71], a[94:95], v[230:231], v[68:71]// 00000000978C: D3F30044 0D13CD5E
	s_waitcnt lgkmcnt(0)                                       // 000000009794: BF8CC07F
	v_and_b32_e32 v187, 0xffff0000, v185                       // 000000009798: 277772FF FFFF0000
	v_lshlrev_b32_e32 v186, 16, v185                           // 0000000097A0: 25757290
	v_and_b32_e32 v185, 0xffff0000, v184                       // 0000000097A4: 277370FF FFFF0000
	v_lshlrev_b32_e32 v184, 16, v184                           // 0000000097AC: 25717090
	v_and_b32_e32 v191, 0xffff0000, v189                       // 0000000097B0: 277F7AFF FFFF0000
	v_lshlrev_b32_e32 v190, 16, v189                           // 0000000097B8: 257D7A90
	v_and_b32_e32 v189, 0xffff0000, v188                       // 0000000097BC: 277B78FF FFFF0000
	v_lshlrev_b32_e32 v188, 16, v188                           // 0000000097C4: 25797890
	v_and_b32_e32 v195, 0xffff0000, v193                       // 0000000097C8: 278782FF FFFF0000
	v_lshlrev_b32_e32 v194, 16, v193                           // 0000000097D0: 25858290
	v_and_b32_e32 v193, 0xffff0000, v192                       // 0000000097D4: 278380FF FFFF0000
	v_lshlrev_b32_e32 v192, 16, v192                           // 0000000097DC: 25818090
	v_and_b32_e32 v199, 0xffff0000, v197                       // 0000000097E0: 278F8AFF FFFF0000
	v_lshlrev_b32_e32 v198, 16, v197                           // 0000000097E8: 258D8A90
	v_and_b32_e32 v197, 0xffff0000, v196                       // 0000000097EC: 278B88FF FFFF0000
	v_lshlrev_b32_e32 v196, 16, v196                           // 0000000097F4: 25898890
	v_mul_f32_dpp v184, v14, v184 row_newbcast:8 row_mask:0xf bank_mask:0xf// 0000000097F8: 0B7170FA FF01580E
	v_mul_f32_dpp v185, v14, v185 row_newbcast:9 row_mask:0xf bank_mask:0xf// 000000009800: 0B7372FA FF01590E
	v_mul_f32_dpp v186, v14, v186 row_newbcast:10 row_mask:0xf bank_mask:0xf// 000000009808: 0B7574FA FF015A0E
	v_mul_f32_dpp v187, v14, v187 row_newbcast:11 row_mask:0xf bank_mask:0xf// 000000009810: 0B7776FA FF015B0E
	v_mul_f32_dpp v188, v14, v188 row_newbcast:8 row_mask:0xf bank_mask:0xf// 000000009818: 0B7978FA FF01580E
	v_mul_f32_dpp v189, v14, v189 row_newbcast:9 row_mask:0xf bank_mask:0xf// 000000009820: 0B7B7AFA FF01590E
	v_mul_f32_dpp v190, v14, v190 row_newbcast:10 row_mask:0xf bank_mask:0xf// 000000009828: 0B7D7CFA FF015A0E
	v_mul_f32_dpp v191, v14, v191 row_newbcast:11 row_mask:0xf bank_mask:0xf// 000000009830: 0B7F7EFA FF015B0E
	v_mul_f32_dpp v192, v14, v192 row_newbcast:12 row_mask:0xf bank_mask:0xf// 000000009838: 0B8180FA FF015C0E
	v_mul_f32_dpp v193, v14, v193 row_newbcast:13 row_mask:0xf bank_mask:0xf// 000000009840: 0B8382FA FF015D0E
	v_mul_f32_dpp v194, v14, v194 row_newbcast:14 row_mask:0xf bank_mask:0xf// 000000009848: 0B8584FA FF015E0E
	v_mul_f32_dpp v195, v14, v195 row_newbcast:15 row_mask:0xf bank_mask:0xf// 000000009850: 0B8786FA FF015F0E
	v_mul_f32_dpp v196, v14, v196 row_newbcast:12 row_mask:0xf bank_mask:0xf// 000000009858: 0B8988FA FF015C0E
	v_mul_f32_dpp v197, v14, v197 row_newbcast:13 row_mask:0xf bank_mask:0xf// 000000009860: 0B8B8AFA FF015D0E
	v_mul_f32_dpp v198, v14, v198 row_newbcast:14 row_mask:0xf bank_mask:0xf// 000000009868: 0B8D8CFA FF015E0E
	v_mul_f32_dpp v199, v14, v199 row_newbcast:15 row_mask:0xf bank_mask:0xf// 000000009870: 0B8F8EFA FF015F0E
	v_mfma_f32_16x16x32_fp8_fp8 v[72:75], a[96:97], v[200:201], v[72:75]// 000000009878: D3F30048 0D239160
	buffer_load_dwordx4 a[16:19], v37, s[24:27], 0 offen       // 000000009880: E05C1000 80861025
	v_mfma_f32_16x16x32_fp8_fp8 v[72:75], a[98:99], v[202:203], v[72:75]// 000000009888: D3F30048 0D239562
	v_mov_b32_e32 v46, 0x358637bd                              // 000000009890: 7E5C02FF 358637BD
	v_mov_b32_e32 v47, 0x358637bd                              // 000000009898: 7E5E02FF 358637BD
	v_max3_f32 v46, |v168|, |v169|, v46                        // 0000000098A0: D1D3032E 04BB53A8
	v_max3_f32 v46, |v170|, |v171|, v46                        // 0000000098A8: D1D3032E 04BB57AA
	v_max3_f32 v47, |v172|, |v173|, v47                        // 0000000098B0: D1D3032F 04BF5BAC
	v_max3_f32 v47, |v174|, |v175|, v47                        // 0000000098B8: D1D3032F 04BF5FAE
	v_max3_f32 v46, |v176|, |v177|, v46                        // 0000000098C0: D1D3032E 04BB63B0
	v_max3_f32 v46, |v178|, |v179|, v46                        // 0000000098C8: D1D3032E 04BB67B2
	v_max3_f32 v47, |v180|, |v181|, v47                        // 0000000098D0: D1D3032F 04BF6BB4
	v_max3_f32 v47, |v182|, |v183|, v47                        // 0000000098D8: D1D3032F 04BF6FB6
	v_max3_f32 v46, |v184|, |v185|, v46                        // 0000000098E0: D1D3032E 04BB73B8
	v_max3_f32 v46, |v186|, |v187|, v46                        // 0000000098E8: D1D3032E 04BB77BA
	v_max3_f32 v47, |v188|, |v189|, v47                        // 0000000098F0: D1D3032F 04BF7BBC
	v_max3_f32 v47, |v190|, |v191|, v47                        // 0000000098F8: D1D3032F 04BF7FBE
	v_max3_f32 v46, |v192|, |v193|, v46                        // 000000009900: D1D3032E 04BB83C0
	v_max3_f32 v46, |v194|, |v195|, v46                        // 000000009908: D1D3032E 04BB87C2
	v_max3_f32 v47, |v196|, |v197|, v47                        // 000000009910: D1D3032F 04BF8BC4
	v_max3_f32 v47, |v198|, |v199|, v47                        // 000000009918: D1D3032F 04BF8FC6
	v_mfma_f32_16x16x32_fp8_fp8 v[72:75], a[100:101], v[204:205], v[72:75]// 000000009920: D3F30048 0D239964
	v_mfma_f32_16x16x32_fp8_fp8 v[72:75], a[102:103], v[206:207], v[72:75]// 000000009928: D3F30048 0D239D66
	ds_write_b64 v3, v[46:47]                                  // 000000009930: D89A0000 00002E03
	v_mfma_f32_16x16x32_fp8_fp8 v[72:75], a[104:105], v[208:209], v[72:75]// 000000009938: D3F30048 0D23A168
	buffer_load_dwordx4 a[20:23], v37, s[24:27], 0 offen offset:1024// 000000009940: E05C1400 80861425
	v_mfma_f32_16x16x32_fp8_fp8 v[72:75], a[106:107], v[210:211], v[72:75]// 000000009948: D3F30048 0D23A56A
	s_waitcnt lgkmcnt(0)                                       // 000000009950: BF8CC07F
	s_barrier                                                  // 000000009954: BF8A0000
	v_mfma_f32_16x16x32_fp8_fp8 v[72:75], a[108:109], v[212:213], v[72:75]// 000000009958: D3F30048 0D23A96C
	v_mfma_f32_16x16x32_fp8_fp8 v[72:75], a[110:111], v[214:215], v[72:75]// 000000009960: D3F30048 0D23AD6E
	ds_read_b64 v[46:47], v4                                   // 000000009968: D8EC0000 2E000004
	ds_read_b64 v[48:49], v4 offset:128                        // 000000009970: D8EC0080 30000004
	v_mfma_f32_16x16x32_fp8_fp8 v[76:79], a[96:97], v[216:217], v[76:79]// 000000009978: D3F3004C 0D33B160
	buffer_load_dwordx4 a[24:27], v37, s[24:27], 0 offen offset:2048// 000000009980: E05C1800 80861825
	v_mfma_f32_16x16x32_fp8_fp8 v[76:79], a[98:99], v[218:219], v[76:79]// 000000009988: D3F3004C 0D33B562
	ds_read_b64 v[50:51], v4 offset:256                        // 000000009990: D8EC0100 32000004
	ds_read_b64 v[52:53], v4 offset:384                        // 000000009998: D8EC0180 34000004
	v_mfma_f32_16x16x32_fp8_fp8 v[76:79], a[100:101], v[220:221], v[76:79]// 0000000099A0: D3F3004C 0D33B964
	v_mfma_f32_16x16x32_fp8_fp8 v[76:79], a[102:103], v[222:223], v[76:79]// 0000000099A8: D3F3004C 0D33BD66
	ds_read_b64 v[54:55], v4 offset:512                        // 0000000099B0: D8EC0200 36000004
	ds_read_b64 v[56:57], v4 offset:640                        // 0000000099B8: D8EC0280 38000004
	v_mfma_f32_16x16x32_fp8_fp8 v[76:79], a[104:105], v[224:225], v[76:79]// 0000000099C0: D3F3004C 0D33C168
	buffer_load_dwordx4 a[28:31], v37, s[24:27], 0 offen offset:3072// 0000000099C8: E05C1C00 80861C25
	v_mfma_f32_16x16x32_fp8_fp8 v[76:79], a[106:107], v[226:227], v[76:79]// 0000000099D0: D3F3004C 0D33C56A
	ds_read_b64 v[58:59], v4 offset:768                        // 0000000099D8: D8EC0300 3A000004
	ds_read_b64 v[60:61], v4 offset:896                        // 0000000099E0: D8EC0380 3C000004
	v_mfma_f32_16x16x32_fp8_fp8 v[76:79], a[108:109], v[228:229], v[76:79]// 0000000099E8: D3F3004C 0D33C96C
	v_mfma_f32_16x16x32_fp8_fp8 v[76:79], a[110:111], v[230:231], v[76:79]// 0000000099F0: D3F3004C 0D33CD6E
	s_waitcnt vmcnt(16)                                        // 0000000099F8: BF8C4F70
	v_mfma_f32_16x16x32_fp8_fp8 v[80:83], a[112:113], v[200:201], v[80:83]// 0000000099FC: D3F30050 0D439170
	buffer_load_dwordx4 a[32:35], v38, s[24:27], 0 offen       // 000000009A04: E05C1000 80862026
	v_mfma_f32_16x16x32_fp8_fp8 v[80:83], a[114:115], v[202:203], v[80:83]// 000000009A0C: D3F30050 0D439572
	s_waitcnt lgkmcnt(0)                                       // 000000009A14: BF8CC07F
	v_mov_b32_e32 v22, 0x358637bd                              // 000000009A18: 7E2C02FF 358637BD
	v_mov_b32_e32 v23, 0x358637bd                              // 000000009A20: 7E2E02FF 358637BD
	v_max3_f32 v22, |v46|, |v48|, v22                          // 000000009A28: D1D30316 045A612E
	v_max3_f32 v23, |v47|, |v49|, v23                          // 000000009A30: D1D30317 045E632F
	v_max3_f32 v22, |v50|, |v52|, v22                          // 000000009A38: D1D30316 045A6932
	v_max3_f32 v23, |v51|, |v53|, v23                          // 000000009A40: D1D30317 045E6B33
	v_max3_f32 v22, |v54|, |v56|, v22                          // 000000009A48: D1D30316 045A7136
	v_max3_f32 v23, |v55|, |v57|, v23                          // 000000009A50: D1D30317 045E7337
	v_max3_f32 v22, |v58|, |v60|, v22                          // 000000009A58: D1D30316 045A793A
	v_max3_f32 v23, |v59|, |v61|, v23                          // 000000009A60: D1D30317 045E7B3B
	v_mfma_f32_16x16x32_fp8_fp8 v[80:83], a[116:117], v[204:205], v[80:83]// 000000009A68: D3F30050 0D439974
	v_mfma_f32_16x16x32_fp8_fp8 v[80:83], a[118:119], v[206:207], v[80:83]// 000000009A70: D3F30050 0D439D76
	ds_read_b64 v[46:47], v4 offset:1024                       // 000000009A78: D8EC0400 2E000004
	ds_read_b64 v[48:49], v4 offset:1152                       // 000000009A80: D8EC0480 30000004
	v_mfma_f32_16x16x32_fp8_fp8 v[80:83], a[120:121], v[208:209], v[80:83]// 000000009A88: D3F30050 0D43A178
	buffer_load_dwordx4 a[36:39], v38, s[24:27], 0 offen offset:1024// 000000009A90: E05C1400 80862426
	v_mfma_f32_16x16x32_fp8_fp8 v[80:83], a[122:123], v[210:211], v[80:83]// 000000009A98: D3F30050 0D43A57A
	ds_read_b64 v[50:51], v4 offset:1280                       // 000000009AA0: D8EC0500 32000004
	ds_read_b64 v[52:53], v4 offset:1408                       // 000000009AA8: D8EC0580 34000004
	v_mfma_f32_16x16x32_fp8_fp8 v[80:83], a[124:125], v[212:213], v[80:83]// 000000009AB0: D3F30050 0D43A97C
	v_mfma_f32_16x16x32_fp8_fp8 v[80:83], a[126:127], v[214:215], v[80:83]// 000000009AB8: D3F30050 0D43AD7E
	ds_read_b64 v[54:55], v4 offset:1536                       // 000000009AC0: D8EC0600 36000004
	ds_read_b64 v[56:57], v4 offset:1664                       // 000000009AC8: D8EC0680 38000004
	v_mfma_f32_16x16x32_fp8_fp8 v[84:87], a[112:113], v[216:217], v[84:87]// 000000009AD0: D3F30054 0D53B170
	buffer_load_dwordx4 a[40:43], v38, s[24:27], 0 offen offset:2048// 000000009AD8: E05C1800 80862826
	v_mfma_f32_16x16x32_fp8_fp8 v[84:87], a[114:115], v[218:219], v[84:87]// 000000009AE0: D3F30054 0D53B572
	ds_read_b64 v[58:59], v4 offset:1792                       // 000000009AE8: D8EC0700 3A000004
	ds_read_b64 v[60:61], v4 offset:1920                       // 000000009AF0: D8EC0780 3C000004
	v_mfma_f32_16x16x32_fp8_fp8 v[84:87], a[116:117], v[220:221], v[84:87]// 000000009AF8: D3F30054 0D53B974
	v_mfma_f32_16x16x32_fp8_fp8 v[84:87], a[118:119], v[222:223], v[84:87]// 000000009B00: D3F30054 0D53BD76
	v_mfma_f32_16x16x32_fp8_fp8 v[84:87], a[120:121], v[224:225], v[84:87]// 000000009B08: D3F30054 0D53C178
	buffer_load_dwordx4 a[44:47], v38, s[24:27], 0 offen offset:3072// 000000009B10: E05C1C00 80862C26
	v_mfma_f32_16x16x32_fp8_fp8 v[84:87], a[122:123], v[226:227], v[84:87]// 000000009B18: D3F30054 0D53C57A
	s_waitcnt lgkmcnt(0)                                       // 000000009B20: BF8CC07F
	v_max3_f32 v22, |v46|, |v48|, v22                          // 000000009B24: D1D30316 045A612E
	v_max3_f32 v23, |v47|, |v49|, v23                          // 000000009B2C: D1D30317 045E632F
	v_max3_f32 v22, |v50|, |v52|, v22                          // 000000009B34: D1D30316 045A6932
	v_max3_f32 v23, |v51|, |v53|, v23                          // 000000009B3C: D1D30317 045E6B33
	v_max3_f32 v22, |v54|, |v56|, v22                          // 000000009B44: D1D30316 045A7136
	v_max3_f32 v23, |v55|, |v57|, v23                          // 000000009B4C: D1D30317 045E7337
	v_max3_f32 v22, |v58|, |v60|, v22                          // 000000009B54: D1D30316 045A793A
	v_max3_f32 v23, |v59|, |v61|, v23                          // 000000009B5C: D1D30317 045E7B3B
	v_mov_b32_e32 v42, 0x43700000                              // 000000009B64: 7E5402FF 43700000
	v_rcp_f32_e32 v22, v22                                     // 000000009B6C: 7E2C4516
	v_rcp_f32_e32 v23, v23                                     // 000000009B70: 7E2E4517
	s_nop 1                                                    // 000000009B74: BF800001
	v_mul_f32_e32 v22, v42, v22                                // 000000009B78: 0A2C2D2A
	v_mul_f32_e32 v23, v42, v23                                // 000000009B7C: 0A2E2F2A
	v_rcp_f32_e32 v24, v22                                     // 000000009B80: 7E304516
	v_rcp_f32_e32 v25, v23                                     // 000000009B84: 7E324517
	v_mov_b32_e32 v42, v22                                     // 000000009B88: 7E540316
	v_mov_b32_e32 v43, v22                                     // 000000009B8C: 7E560316
	v_mov_b32_e32 v44, v23                                     // 000000009B90: 7E580317
	v_mov_b32_e32 v45, v23                                     // 000000009B94: 7E5A0317
	v_pk_mul_f32 v[168:169], v[42:43], v[168:169]              // 000000009B98: D3B140A8 1803512A
	v_pk_mul_f32 v[170:171], v[42:43], v[170:171]              // 000000009BA0: D3B140AA 1803552A
	v_cvt_pk_fp8_f32 v168, v168, v169                          // 000000009BA8: D2A200A8 000353A8
	v_cvt_pk_fp8_f32 v168, v170, v171 op_sel:[0,0,1]           // 000000009BB0: D2A240A8 000357AA
	v_pk_mul_f32 v[172:173], v[44:45], v[172:173]              // 000000009BB8: D3B140AC 1803592C
	v_pk_mul_f32 v[174:175], v[44:45], v[174:175]              // 000000009BC0: D3B140AE 18035D2C
	v_cvt_pk_fp8_f32 v169, v172, v173                          // 000000009BC8: D2A200A9 00035BAC
	v_cvt_pk_fp8_f32 v169, v174, v175 op_sel:[0,0,1]           // 000000009BD0: D2A240A9 00035FAE
	v_pk_mul_f32 v[176:177], v[42:43], v[176:177]              // 000000009BD8: D3B140B0 1803612A
	v_pk_mul_f32 v[178:179], v[42:43], v[178:179]              // 000000009BE0: D3B140B2 1803652A
	v_cvt_pk_fp8_f32 v170, v176, v177                          // 000000009BE8: D2A200AA 000363B0
	v_cvt_pk_fp8_f32 v170, v178, v179 op_sel:[0,0,1]           // 000000009BF0: D2A240AA 000367B2
	v_pk_mul_f32 v[180:181], v[44:45], v[180:181]              // 000000009BF8: D3B140B4 1803692C
	v_pk_mul_f32 v[182:183], v[44:45], v[182:183]              // 000000009C00: D3B140B6 18036D2C
	v_cvt_pk_fp8_f32 v171, v180, v181                          // 000000009C08: D2A200AB 00036BB4
	v_cvt_pk_fp8_f32 v171, v182, v183 op_sel:[0,0,1]           // 000000009C10: D2A240AB 00036FB6
	v_pk_mul_f32 v[184:185], v[42:43], v[184:185]              // 000000009C18: D3B140B8 1803712A
	v_pk_mul_f32 v[186:187], v[42:43], v[186:187]              // 000000009C20: D3B140BA 1803752A
	v_cvt_pk_fp8_f32 v172, v184, v185                          // 000000009C28: D2A200AC 000373B8
	v_cvt_pk_fp8_f32 v172, v186, v187 op_sel:[0,0,1]           // 000000009C30: D2A240AC 000377BA
	v_pk_mul_f32 v[188:189], v[44:45], v[188:189]              // 000000009C38: D3B140BC 1803792C
	v_pk_mul_f32 v[190:191], v[44:45], v[190:191]              // 000000009C40: D3B140BE 18037D2C
	v_cvt_pk_fp8_f32 v173, v188, v189                          // 000000009C48: D2A200AD 00037BBC
	v_cvt_pk_fp8_f32 v173, v190, v191 op_sel:[0,0,1]           // 000000009C50: D2A240AD 00037FBE
	v_pk_mul_f32 v[192:193], v[42:43], v[192:193]              // 000000009C58: D3B140C0 1803812A
	v_pk_mul_f32 v[194:195], v[42:43], v[194:195]              // 000000009C60: D3B140C2 1803852A
	v_cvt_pk_fp8_f32 v174, v192, v193                          // 000000009C68: D2A200AE 000383C0
	v_cvt_pk_fp8_f32 v174, v194, v195 op_sel:[0,0,1]           // 000000009C70: D2A240AE 000387C2
	v_pk_mul_f32 v[196:197], v[44:45], v[196:197]              // 000000009C78: D3B140C4 1803892C
	v_pk_mul_f32 v[198:199], v[44:45], v[198:199]              // 000000009C80: D3B140C6 18038D2C
	v_cvt_pk_fp8_f32 v175, v196, v197                          // 000000009C88: D2A200AF 00038BC4
	v_cvt_pk_fp8_f32 v175, v198, v199 op_sel:[0,0,1]           // 000000009C90: D2A240AF 00038FC6
	v_mfma_f32_16x16x32_fp8_fp8 v[84:87], a[124:125], v[228:229], v[84:87]// 000000009C98: D3F30054 0D53C97C
	v_mfma_f32_16x16x32_fp8_fp8 v[84:87], a[126:127], v[230:231], v[84:87]// 000000009CA0: D3F30054 0D53CD7E
	ds_write_b32 v12, v168 offset:2048                         // 000000009CA8: D81A0800 0000A80C
	ds_write_b32 v12, v169 offset:6144                         // 000000009CB0: D81A1800 0000A90C
	s_waitcnt vmcnt(16)                                        // 000000009CB8: BF8C4F70
	v_mfma_f32_16x16x32_fp8_fp8 v[88:91], a[128:129], v[200:201], v[88:91]// 000000009CBC: D3F30058 0D639180
	buffer_load_dwordx4 a[48:51], v39, s[24:27], 0 offen       // 000000009CC4: E05C1000 80863027
	v_mfma_f32_16x16x32_fp8_fp8 v[88:91], a[130:131], v[202:203], v[88:91]// 000000009CCC: D3F30058 0D639582
	ds_write_b32 v12, v170 offset:3072                         // 000000009CD4: D81A0C00 0000AA0C
	ds_write_b32 v12, v171 offset:7168                         // 000000009CDC: D81A1C00 0000AB0C
	v_mfma_f32_16x16x32_fp8_fp8 v[88:91], a[132:133], v[204:205], v[88:91]// 000000009CE4: D3F30058 0D639984
	v_mfma_f32_16x16x32_fp8_fp8 v[88:91], a[134:135], v[206:207], v[88:91]// 000000009CEC: D3F30058 0D639D86
	ds_write_b32 v12, v172 offset:4096                         // 000000009CF4: D81A1000 0000AC0C
	ds_write_b32 v12, v173 offset:8192                         // 000000009CFC: D81A2000 0000AD0C
	v_mfma_f32_16x16x32_fp8_fp8 v[88:91], a[136:137], v[208:209], v[88:91]// 000000009D04: D3F30058 0D63A188
	buffer_load_dwordx4 a[52:55], v39, s[24:27], 0 offen offset:1024// 000000009D0C: E05C1400 80863427
	v_mfma_f32_16x16x32_fp8_fp8 v[88:91], a[138:139], v[210:211], v[88:91]// 000000009D14: D3F30058 0D63A58A
	ds_write_b32 v12, v174 offset:5120                         // 000000009D1C: D81A1400 0000AE0C
	ds_write_b32 v12, v175 offset:9216                         // 000000009D24: D81A2400 0000AF0C
	v_mfma_f32_16x16x32_fp8_fp8 v[88:91], a[140:141], v[212:213], v[88:91]// 000000009D2C: D3F30058 0D63A98C
	v_mfma_f32_16x16x32_fp8_fp8 v[88:91], a[142:143], v[214:215], v[88:91]// 000000009D34: D3F30058 0D63AD8E
	v_mfma_f32_16x16x32_fp8_fp8 v[92:95], a[128:129], v[216:217], v[92:95]// 000000009D3C: D3F3005C 0D73B180
	buffer_load_dwordx4 a[56:59], v39, s[24:27], 0 offen offset:2048// 000000009D44: E05C1800 80863827
	v_mfma_f32_16x16x32_fp8_fp8 v[92:95], a[130:131], v[218:219], v[92:95]// 000000009D4C: D3F3005C 0D73B582
	v_mfma_f32_16x16x32_fp8_fp8 v[92:95], a[132:133], v[220:221], v[92:95]// 000000009D54: D3F3005C 0D73B984
	v_mfma_f32_16x16x32_fp8_fp8 v[92:95], a[134:135], v[222:223], v[92:95]// 000000009D5C: D3F3005C 0D73BD86
	s_waitcnt lgkmcnt(0)                                       // 000000009D64: BF8CC07F
	s_barrier                                                  // 000000009D68: BF8A0000
	v_mfma_f32_16x16x32_fp8_fp8 v[92:95], a[136:137], v[224:225], v[92:95]// 000000009D6C: D3F3005C 0D73C188
	buffer_load_dwordx4 a[60:63], v39, s[24:27], 0 offen offset:3072// 000000009D74: E05C1C00 80863C27
	v_mfma_f32_16x16x32_fp8_fp8 v[92:95], a[138:139], v[226:227], v[92:95]// 000000009D7C: D3F3005C 0D73C58A
	ds_read_b64 v[168:169], v13 offset:2048                    // 000000009D84: D8EC0800 A800000D
	ds_read_b64 v[170:171], v13 offset:2176                    // 000000009D8C: D8EC0880 AA00000D
	v_mfma_f32_16x16x32_fp8_fp8 v[92:95], a[140:141], v[228:229], v[92:95]// 000000009D94: D3F3005C 0D73C98C
	v_mfma_f32_16x16x32_fp8_fp8 v[92:95], a[142:143], v[230:231], v[92:95]// 000000009D9C: D3F3005C 0D73CD8E
	ds_read_b64 v[172:173], v13 offset:3072                    // 000000009DA4: D8EC0C00 AC00000D
	ds_read_b64 v[174:175], v13 offset:3200                    // 000000009DAC: D8EC0C80 AE00000D
	s_waitcnt vmcnt(16)                                        // 000000009DB4: BF8C4F70
	v_mfma_f32_16x16x32_fp8_fp8 v[96:99], a[144:145], v[200:201], v[96:99]// 000000009DB8: D3F30060 0D839190
	buffer_load_dwordx4 a[64:67], v40, s[24:27], 0 offen       // 000000009DC0: E05C1000 80864028
	v_mfma_f32_16x16x32_fp8_fp8 v[96:99], a[146:147], v[202:203], v[96:99]// 000000009DC8: D3F30060 0D839592
	ds_read_b64 v[176:177], v13 offset:4096                    // 000000009DD0: D8EC1000 B000000D
	ds_read_b64 v[178:179], v13 offset:4224                    // 000000009DD8: D8EC1080 B200000D
	v_mfma_f32_16x16x32_fp8_fp8 v[96:99], a[148:149], v[204:205], v[96:99]// 000000009DE0: D3F30060 0D839994
	v_mfma_f32_16x16x32_fp8_fp8 v[96:99], a[150:151], v[206:207], v[96:99]// 000000009DE8: D3F30060 0D839D96
	ds_read_b64 v[180:181], v13 offset:5120                    // 000000009DF0: D8EC1400 B400000D
	ds_read_b64 v[182:183], v13 offset:5248                    // 000000009DF8: D8EC1480 B600000D
	v_mfma_f32_16x16x32_fp8_fp8 v[96:99], a[152:153], v[208:209], v[96:99]// 000000009E00: D3F30060 0D83A198
	buffer_load_dwordx4 a[68:71], v40, s[24:27], 0 offen offset:1024// 000000009E08: E05C1400 80864428
	v_mfma_f32_16x16x32_fp8_fp8 v[96:99], a[154:155], v[210:211], v[96:99]// 000000009E10: D3F30060 0D83A59A
	ds_read_b64 v[184:185], v13 offset:6144                    // 000000009E18: D8EC1800 B800000D
	ds_read_b64 v[186:187], v13 offset:6272                    // 000000009E20: D8EC1880 BA00000D
	v_mfma_f32_16x16x32_fp8_fp8 v[96:99], a[156:157], v[212:213], v[96:99]// 000000009E28: D3F30060 0D83A99C
	v_mfma_f32_16x16x32_fp8_fp8 v[96:99], a[158:159], v[214:215], v[96:99]// 000000009E30: D3F30060 0D83AD9E
	ds_read_b64 v[188:189], v13 offset:7168                    // 000000009E38: D8EC1C00 BC00000D
	ds_read_b64 v[190:191], v13 offset:7296                    // 000000009E40: D8EC1C80 BE00000D
	v_mfma_f32_16x16x32_fp8_fp8 v[100:103], a[144:145], v[216:217], v[100:103]// 000000009E48: D3F30064 0D93B190
	buffer_load_dwordx4 a[72:75], v40, s[24:27], 0 offen offset:2048// 000000009E50: E05C1800 80864828
	v_mfma_f32_16x16x32_fp8_fp8 v[100:103], a[146:147], v[218:219], v[100:103]// 000000009E58: D3F30064 0D93B592
	ds_read_b64 v[192:193], v13 offset:8192                    // 000000009E60: D8EC2000 C000000D
	ds_read_b64 v[194:195], v13 offset:8320                    // 000000009E68: D8EC2080 C200000D
	v_mfma_f32_16x16x32_fp8_fp8 v[100:103], a[148:149], v[220:221], v[100:103]// 000000009E70: D3F30064 0D93B994
	v_mfma_f32_16x16x32_fp8_fp8 v[100:103], a[150:151], v[222:223], v[100:103]// 000000009E78: D3F30064 0D93BD96
	ds_read_b64 v[196:197], v13 offset:9216                    // 000000009E80: D8EC2400 C400000D
	ds_read_b64 v[198:199], v13 offset:9344                    // 000000009E88: D8EC2480 C600000D
	v_mfma_f32_16x16x32_fp8_fp8 v[100:103], a[152:153], v[224:225], v[100:103]// 000000009E90: D3F30064 0D93C198
	buffer_load_dwordx4 a[76:79], v40, s[24:27], 0 offen offset:3072// 000000009E98: E05C1C00 80864C28
	v_mfma_f32_16x16x32_fp8_fp8 v[100:103], a[154:155], v[226:227], v[100:103]// 000000009EA0: D3F30064 0D93C59A
	v_mfma_f32_16x16x32_fp8_fp8 v[100:103], a[156:157], v[228:229], v[100:103]// 000000009EA8: D3F30064 0D93C99C
	v_mfma_f32_16x16x32_fp8_fp8 v[100:103], a[158:159], v[230:231], v[100:103]// 000000009EB0: D3F30064 0D93CD9E
	s_add_u32 s60, 0x200, s80                                  // 000000009EB8: 803C50FF 00000200
	s_cmp_lt_u32 s60, s81                                      // 000000009EC0: BF0A513C
	s_cselect_b32 s57, s57, 0                                  // 000000009EC4: 85398039
	s_cselect_b32 s91, s91, 0                                  // 000000009EC8: 855B805B
	s_add_u32 s60, 0x200, s80                                  // 000000009ECC: 803C50FF 00000200
	s_cmp_lt_u32 s60, s81                                      // 000000009ED4: BF0A513C
	s_cselect_b32 s58, s58, 0                                  // 000000009ED8: 853A803A
	s_add_u32 s20, s57, s20                                    // 000000009EDC: 80141439
	s_addc_u32 s21, 0, s21                                     // 000000009EE0: 82151580
	s_add_u32 s28, s91, s28                                    // 000000009EE4: 801C1C5B
	s_addc_u32 s29, 0, s29                                     // 000000009EE8: 821D1D80
	s_add_u32 s24, s58, s24                                    // 000000009EEC: 8018183A
	s_addc_u32 s25, 0, s25                                     // 000000009EF0: 82191980
	s_add_u32 s92, s90, s92                                    // 000000009EF4: 805C5C5A
	s_addc_u32 s93, 0, s93                                     // 000000009EF8: 825D5D80
	v_mov_b32_e32 v42, v26                                     // 000000009EFC: 7E54031A
	v_mov_b32_e32 v44, v27                                     // 000000009F00: 7E58031B
	v_mov_b32_e32 v43, v42                                     // 000000009F04: 7E56032A
	v_mov_b32_e32 v45, v44                                     // 000000009F08: 7E5A032C
	v_pk_mul_f32 v[64:65], v[42:43], v[64:65]                  // 000000009F0C: D3B14040 1802812A
	v_pk_mul_f32 v[66:67], v[42:43], v[66:67]                  // 000000009F14: D3B14042 1802852A
	v_pk_mul_f32 v[68:69], v[44:45], v[68:69]                  // 000000009F1C: D3B14044 1802892C
	v_pk_mul_f32 v[70:71], v[44:45], v[70:71]                  // 000000009F24: D3B14046 18028D2C
	v_pk_mul_f32 v[72:73], v[42:43], v[72:73]                  // 000000009F2C: D3B14048 1802912A
	v_pk_mul_f32 v[74:75], v[42:43], v[74:75]                  // 000000009F34: D3B1404A 1802952A
	v_pk_mul_f32 v[76:77], v[44:45], v[76:77]                  // 000000009F3C: D3B1404C 1802992C
	v_pk_mul_f32 v[78:79], v[44:45], v[78:79]                  // 000000009F44: D3B1404E 18029D2C
	v_pk_mul_f32 v[80:81], v[42:43], v[80:81]                  // 000000009F4C: D3B14050 1802A12A
	v_pk_mul_f32 v[82:83], v[42:43], v[82:83]                  // 000000009F54: D3B14052 1802A52A
	v_pk_mul_f32 v[84:85], v[44:45], v[84:85]                  // 000000009F5C: D3B14054 1802A92C
	v_pk_mul_f32 v[86:87], v[44:45], v[86:87]                  // 000000009F64: D3B14056 1802AD2C
	v_pk_mul_f32 v[88:89], v[42:43], v[88:89]                  // 000000009F6C: D3B14058 1802B12A
	v_pk_mul_f32 v[90:91], v[42:43], v[90:91]                  // 000000009F74: D3B1405A 1802B52A
	v_pk_mul_f32 v[92:93], v[44:45], v[92:93]                  // 000000009F7C: D3B1405C 1802B92C
	v_pk_mul_f32 v[94:95], v[44:45], v[94:95]                  // 000000009F84: D3B1405E 1802BD2C
	v_pk_mul_f32 v[96:97], v[42:43], v[96:97]                  // 000000009F8C: D3B14060 1802C12A
	v_pk_mul_f32 v[98:99], v[42:43], v[98:99]                  // 000000009F94: D3B14062 1802C52A
	v_pk_mul_f32 v[100:101], v[44:45], v[100:101]              // 000000009F9C: D3B14064 1802C92C
	v_pk_mul_f32 v[102:103], v[44:45], v[102:103]              // 000000009FA4: D3B14066 1802CD2C
	s_addk_i32 s80, 0x100                                      // 000000009FAC: B7500100
	s_cmp_lt_i32 s80, s81                                      // 000000009FB0: BF045150
	s_cbranch_scc0 label_1D2F                                  // 000000009FB4: BF840001
	s_branch label_1532                                        // 000000009FB8: BF82F803

0000000000009fbc <label_1D2F>:
	s_mov_b32 s36, -1                                          // 000000009FBC: BEA400C1
	s_mov_b32 s37, -1                                          // 000000009FC0: BEA500C1
	s_mov_b64 s[60:61], 0                                      // 000000009FC4: BEBC0180
	s_cmp_lt_u32 s82, s66                                      // 000000009FC8: BF0A4252
	s_cselect_b64 s[20:21], s[36:37], s[60:61]                 // 000000009FCC: 85943C24
	s_cmp_lt_u32 s83, s66                                      // 000000009FD0: BF0A4253
	s_cselect_b64 s[22:23], s[36:37], s[60:61]                 // 000000009FD4: 85963C24
	s_cmp_lt_u32 s84, s66                                      // 000000009FD8: BF0A4254
	s_cselect_b64 s[24:25], s[36:37], s[60:61]                 // 000000009FDC: 85983C24
	s_cmp_lt_u32 s85, s66                                      // 000000009FE0: BF0A4255
	s_cselect_b64 s[26:27], s[36:37], s[60:61]                 // 000000009FE4: 859A3C24
	s_cmp_lt_u32 s86, s66                                      // 000000009FE8: BF0A4256
	s_cselect_b64 s[28:29], s[36:37], s[60:61]                 // 000000009FEC: 859C3C24
	s_cmp_lt_u32 s87, s66                                      // 000000009FF0: BF0A4257
	s_cselect_b64 s[30:31], s[36:37], s[60:61]                 // 000000009FF4: 859E3C24
	s_cmp_lt_u32 s88, s66                                      // 000000009FF8: BF0A4258
	s_cselect_b64 s[32:33], s[36:37], s[60:61]                 // 000000009FFC: 85A03C24
	s_cmp_lt_u32 s89, s66                                      // 00000000A000: BF0A4259
	s_cselect_b64 s[34:35], s[36:37], s[60:61]                 // 00000000A004: 85A23C24
	v_mov_b32_e32 v54, 0xbfcc4231                              // 00000000A008: 7E6C02FF BFCC4231
	v_mov_b32_e32 v55, 0xbfcc4231                              // 00000000A010: 7E6E02FF BFCC4231
	v_mov_b32_e32 v51, 0xffff0000                              // 00000000A018: 7E6602FF FFFF0000
	v_mov_b32_e32 v52, 0x7fff0000                              // 00000000A020: 7E6802FF 7FFF0000
	v_mov_b32_e32 v53, 0x7fff                                  // 00000000A028: 7E6A02FF 00007FFF
	s_mul_i32 s60, s5, 16                                      // 00000000A030: 923C9005
	s_mul_i32 s60, s60, s70                                    // 00000000A034: 923C463C
	v_lshlrev_b32_e32 v46, 4, v0                               // 00000000A038: 245C0084
	v_add_u32_e32 v46, s60, v46                                // 00000000A03C: 685C5C3C
	s_mul_i32 s60, 64, s70                                     // 00000000A040: 923C46C0
	v_add_u32_e32 v47, s60, v46                                // 00000000A044: 685E5C3C
	v_add_u32_e32 v48, s60, v47                                // 00000000A048: 68605E3C
	v_add_u32_e32 v49, s60, v48                                // 00000000A04C: 6862603C
	v_lshrrev_b32_e32 v42, 4, v0                               // 00000000A050: 20540084
	v_mul_i32_i24_e32 v3, 34, v42                              // 00000000A054: 0C0654A2
	v_and_b32_e32 v42, 15, v0                                  // 00000000A058: 2654008F
	v_mul_i32_i24_e32 v43, 2, v42                              // 00000000A05C: 0C565482
	v_add_u32_e32 v3, v43, v3                                  // 00000000A060: 6806072B
	s_mul_i32 s60, s5, 0x88                                    // 00000000A064: 923CFF05 00000088
	v_add_u32_e32 v3, s60, v3                                  // 00000000A06C: 6806063C
	v_lshlrev_b32_e32 v3, 2, v3                                // 00000000A070: 24060682
	v_lshrrev_b32_e32 v42, 1, v0                               // 00000000A074: 20540081
	v_mul_i32_i24_e32 v4, 34, v42                              // 00000000A078: 0C0854A2
	v_and_b32_e32 v43, 1, v0                                   // 00000000A07C: 26560081
	v_add_u32_e32 v4, v43, v4                                  // 00000000A080: 6808092B
	s_mul_i32 s60, s5, 2                                       // 00000000A084: 923C8205
	v_add_u32_e32 v4, s60, v4                                  // 00000000A088: 6808083C
	v_lshlrev_b32_e32 v4, 2, v4                                // 00000000A08C: 24080882
	v_mul_f32_dpp v128, v16, v128 row_newbcast:0 row_mask:0xf bank_mask:0xf// 00000000A090: 0B0100FA FF015010
	v_mul_f32_dpp v129, v16, v129 row_newbcast:1 row_mask:0xf bank_mask:0xf// 00000000A098: 0B0302FA FF015110
	v_mul_f32_dpp v130, v16, v130 row_newbcast:2 row_mask:0xf bank_mask:0xf// 00000000A0A0: 0B0504FA FF015210
	v_mul_f32_dpp v131, v16, v131 row_newbcast:3 row_mask:0xf bank_mask:0xf// 00000000A0A8: 0B0706FA FF015310
	v_mul_f32_dpp v132, v16, v132 row_newbcast:0 row_mask:0xf bank_mask:0xf// 00000000A0B0: 0B0908FA FF015010
	v_mul_f32_dpp v133, v16, v133 row_newbcast:1 row_mask:0xf bank_mask:0xf// 00000000A0B8: 0B0B0AFA FF015110
	v_mul_f32_dpp v134, v16, v134 row_newbcast:2 row_mask:0xf bank_mask:0xf// 00000000A0C0: 0B0D0CFA FF015210
	v_mul_f32_dpp v135, v16, v135 row_newbcast:3 row_mask:0xf bank_mask:0xf// 00000000A0C8: 0B0F0EFA FF015310
	v_mul_f32_dpp v136, v16, v136 row_newbcast:4 row_mask:0xf bank_mask:0xf// 00000000A0D0: 0B1110FA FF015410
	v_mul_f32_dpp v137, v16, v137 row_newbcast:5 row_mask:0xf bank_mask:0xf// 00000000A0D8: 0B1312FA FF015510
	v_mul_f32_dpp v138, v16, v138 row_newbcast:6 row_mask:0xf bank_mask:0xf// 00000000A0E0: 0B1514FA FF015610
	v_mul_f32_dpp v139, v16, v139 row_newbcast:7 row_mask:0xf bank_mask:0xf// 00000000A0E8: 0B1716FA FF015710
	v_mul_f32_dpp v140, v16, v140 row_newbcast:4 row_mask:0xf bank_mask:0xf// 00000000A0F0: 0B1918FA FF015410
	v_mul_f32_dpp v141, v16, v141 row_newbcast:5 row_mask:0xf bank_mask:0xf// 00000000A0F8: 0B1B1AFA FF015510
	v_mul_f32_dpp v142, v16, v142 row_newbcast:6 row_mask:0xf bank_mask:0xf// 00000000A100: 0B1D1CFA FF015610
	v_mul_f32_dpp v143, v16, v143 row_newbcast:7 row_mask:0xf bank_mask:0xf// 00000000A108: 0B1F1EFA FF015710
	v_mul_f32_dpp v144, v16, v144 row_newbcast:8 row_mask:0xf bank_mask:0xf// 00000000A110: 0B2120FA FF015810
	v_mul_f32_dpp v145, v16, v145 row_newbcast:9 row_mask:0xf bank_mask:0xf// 00000000A118: 0B2322FA FF015910
	v_mul_f32_dpp v146, v16, v146 row_newbcast:10 row_mask:0xf bank_mask:0xf// 00000000A120: 0B2524FA FF015A10
	v_mul_f32_dpp v147, v16, v147 row_newbcast:11 row_mask:0xf bank_mask:0xf// 00000000A128: 0B2726FA FF015B10
	v_mul_f32_dpp v148, v16, v148 row_newbcast:8 row_mask:0xf bank_mask:0xf// 00000000A130: 0B2928FA FF015810
	v_mul_f32_dpp v149, v16, v149 row_newbcast:9 row_mask:0xf bank_mask:0xf// 00000000A138: 0B2B2AFA FF015910
	v_mul_f32_dpp v150, v16, v150 row_newbcast:10 row_mask:0xf bank_mask:0xf// 00000000A140: 0B2D2CFA FF015A10
	v_mul_f32_dpp v151, v16, v151 row_newbcast:11 row_mask:0xf bank_mask:0xf// 00000000A148: 0B2F2EFA FF015B10
	v_mul_f32_dpp v152, v16, v152 row_newbcast:12 row_mask:0xf bank_mask:0xf// 00000000A150: 0B3130FA FF015C10
	v_mul_f32_dpp v153, v16, v153 row_newbcast:13 row_mask:0xf bank_mask:0xf// 00000000A158: 0B3332FA FF015D10
	v_mul_f32_dpp v154, v16, v154 row_newbcast:14 row_mask:0xf bank_mask:0xf// 00000000A160: 0B3534FA FF015E10
	v_mul_f32_dpp v155, v16, v155 row_newbcast:15 row_mask:0xf bank_mask:0xf// 00000000A168: 0B3736FA FF015F10
	v_mul_f32_dpp v156, v16, v156 row_newbcast:12 row_mask:0xf bank_mask:0xf// 00000000A170: 0B3938FA FF015C10
	v_mul_f32_dpp v157, v16, v157 row_newbcast:13 row_mask:0xf bank_mask:0xf// 00000000A178: 0B3B3AFA FF015D10
	v_mul_f32_dpp v158, v16, v158 row_newbcast:14 row_mask:0xf bank_mask:0xf// 00000000A180: 0B3D3CFA FF015E10
	v_mul_f32_dpp v159, v16, v159 row_newbcast:15 row_mask:0xf bank_mask:0xf// 00000000A188: 0B3F3EFA FF015F10
	v_mul_f32_dpp v160, v17, v160 row_newbcast:0 row_mask:0xf bank_mask:0xf// 00000000A190: 0B4140FA FF015011
	v_mul_f32_dpp v161, v17, v161 row_newbcast:1 row_mask:0xf bank_mask:0xf// 00000000A198: 0B4342FA FF015111
	v_mul_f32_dpp v162, v17, v162 row_newbcast:2 row_mask:0xf bank_mask:0xf// 00000000A1A0: 0B4544FA FF015211
	v_mul_f32_dpp v163, v17, v163 row_newbcast:3 row_mask:0xf bank_mask:0xf// 00000000A1A8: 0B4746FA FF015311
	v_mul_f32_dpp v164, v17, v164 row_newbcast:0 row_mask:0xf bank_mask:0xf// 00000000A1B0: 0B4948FA FF015011
	v_mul_f32_dpp v165, v17, v165 row_newbcast:1 row_mask:0xf bank_mask:0xf// 00000000A1B8: 0B4B4AFA FF015111
	v_mul_f32_dpp v166, v17, v166 row_newbcast:2 row_mask:0xf bank_mask:0xf// 00000000A1C0: 0B4D4CFA FF015211
	v_mul_f32_dpp v167, v17, v167 row_newbcast:3 row_mask:0xf bank_mask:0xf// 00000000A1C8: 0B4F4EFA FF015311
	v_mul_f32_dpp v64, v8, v64 row_newbcast:0 row_mask:0xf bank_mask:0xf// 00000000A1D0: 0A8080FA FF015008
	v_mul_f32_dpp v65, v8, v65 row_newbcast:1 row_mask:0xf bank_mask:0xf// 00000000A1D8: 0A8282FA FF015108
	v_mul_f32_dpp v66, v8, v66 row_newbcast:2 row_mask:0xf bank_mask:0xf// 00000000A1E0: 0A8484FA FF015208
	v_mul_f32_dpp v67, v8, v67 row_newbcast:3 row_mask:0xf bank_mask:0xf// 00000000A1E8: 0A8686FA FF015308
	v_mul_f32_dpp v68, v8, v68 row_newbcast:0 row_mask:0xf bank_mask:0xf// 00000000A1F0: 0A8888FA FF015008
	v_mul_f32_dpp v69, v8, v69 row_newbcast:1 row_mask:0xf bank_mask:0xf// 00000000A1F8: 0A8A8AFA FF015108
	v_mul_f32_dpp v70, v8, v70 row_newbcast:2 row_mask:0xf bank_mask:0xf// 00000000A200: 0A8C8CFA FF015208
	v_mul_f32_dpp v71, v8, v71 row_newbcast:3 row_mask:0xf bank_mask:0xf// 00000000A208: 0A8E8EFA FF015308
	v_mul_f32_dpp v72, v8, v72 row_newbcast:4 row_mask:0xf bank_mask:0xf// 00000000A210: 0A9090FA FF015408
	v_mul_f32_dpp v73, v8, v73 row_newbcast:5 row_mask:0xf bank_mask:0xf// 00000000A218: 0A9292FA FF015508
	v_mul_f32_dpp v74, v8, v74 row_newbcast:6 row_mask:0xf bank_mask:0xf// 00000000A220: 0A9494FA FF015608
	v_mul_f32_dpp v75, v8, v75 row_newbcast:7 row_mask:0xf bank_mask:0xf// 00000000A228: 0A9696FA FF015708
	v_mul_f32_dpp v76, v8, v76 row_newbcast:4 row_mask:0xf bank_mask:0xf// 00000000A230: 0A9898FA FF015408
	v_mul_f32_dpp v77, v8, v77 row_newbcast:5 row_mask:0xf bank_mask:0xf// 00000000A238: 0A9A9AFA FF015508
	v_mul_f32_dpp v78, v8, v78 row_newbcast:6 row_mask:0xf bank_mask:0xf// 00000000A240: 0A9C9CFA FF015608
	v_mul_f32_dpp v79, v8, v79 row_newbcast:7 row_mask:0xf bank_mask:0xf// 00000000A248: 0A9E9EFA FF015708
	v_mul_f32_dpp v80, v8, v80 row_newbcast:8 row_mask:0xf bank_mask:0xf// 00000000A250: 0AA0A0FA FF015808
	v_mul_f32_dpp v81, v8, v81 row_newbcast:9 row_mask:0xf bank_mask:0xf// 00000000A258: 0AA2A2FA FF015908
	v_mul_f32_dpp v82, v8, v82 row_newbcast:10 row_mask:0xf bank_mask:0xf// 00000000A260: 0AA4A4FA FF015A08
	v_mul_f32_dpp v83, v8, v83 row_newbcast:11 row_mask:0xf bank_mask:0xf// 00000000A268: 0AA6A6FA FF015B08
	v_mul_f32_dpp v84, v8, v84 row_newbcast:8 row_mask:0xf bank_mask:0xf// 00000000A270: 0AA8A8FA FF015808
	v_mul_f32_dpp v85, v8, v85 row_newbcast:9 row_mask:0xf bank_mask:0xf// 00000000A278: 0AAAAAFA FF015908
	v_mul_f32_dpp v86, v8, v86 row_newbcast:10 row_mask:0xf bank_mask:0xf// 00000000A280: 0AACACFA FF015A08
	v_mul_f32_dpp v87, v8, v87 row_newbcast:11 row_mask:0xf bank_mask:0xf// 00000000A288: 0AAEAEFA FF015B08
	v_mul_f32_dpp v88, v8, v88 row_newbcast:12 row_mask:0xf bank_mask:0xf// 00000000A290: 0AB0B0FA FF015C08
	v_mul_f32_dpp v89, v8, v89 row_newbcast:13 row_mask:0xf bank_mask:0xf// 00000000A298: 0AB2B2FA FF015D08
	v_mul_f32_dpp v90, v8, v90 row_newbcast:14 row_mask:0xf bank_mask:0xf// 00000000A2A0: 0AB4B4FA FF015E08
	v_mul_f32_dpp v91, v8, v91 row_newbcast:15 row_mask:0xf bank_mask:0xf// 00000000A2A8: 0AB6B6FA FF015F08
	v_mul_f32_dpp v92, v8, v92 row_newbcast:12 row_mask:0xf bank_mask:0xf// 00000000A2B0: 0AB8B8FA FF015C08
	v_mul_f32_dpp v93, v8, v93 row_newbcast:13 row_mask:0xf bank_mask:0xf// 00000000A2B8: 0ABABAFA FF015D08
	v_mul_f32_dpp v94, v8, v94 row_newbcast:14 row_mask:0xf bank_mask:0xf// 00000000A2C0: 0ABCBCFA FF015E08
	v_mul_f32_dpp v95, v8, v95 row_newbcast:15 row_mask:0xf bank_mask:0xf// 00000000A2C8: 0ABEBEFA FF015F08
	v_mul_f32_dpp v96, v9, v96 row_newbcast:0 row_mask:0xf bank_mask:0xf// 00000000A2D0: 0AC0C0FA FF015009
	v_mul_f32_dpp v97, v9, v97 row_newbcast:1 row_mask:0xf bank_mask:0xf// 00000000A2D8: 0AC2C2FA FF015109
	v_mul_f32_dpp v98, v9, v98 row_newbcast:2 row_mask:0xf bank_mask:0xf// 00000000A2E0: 0AC4C4FA FF015209
	v_mul_f32_dpp v99, v9, v99 row_newbcast:3 row_mask:0xf bank_mask:0xf// 00000000A2E8: 0AC6C6FA FF015309
	v_mul_f32_dpp v100, v9, v100 row_newbcast:0 row_mask:0xf bank_mask:0xf// 00000000A2F0: 0AC8C8FA FF015009
	v_mul_f32_dpp v101, v9, v101 row_newbcast:1 row_mask:0xf bank_mask:0xf// 00000000A2F8: 0ACACAFA FF015109
	v_mul_f32_dpp v102, v9, v102 row_newbcast:2 row_mask:0xf bank_mask:0xf// 00000000A300: 0ACCCCFA FF015209
	v_mul_f32_dpp v103, v9, v103 row_newbcast:3 row_mask:0xf bank_mask:0xf// 00000000A308: 0ACECEFA FF015309
	s_waitcnt vmcnt(16)                                        // 00000000A310: BF8C4F70
	buffer_load_dwordx4 a[0:3], v46, s[12:15], 0 offen         // 00000000A314: E05C1000 8083002E
	v_mul_f32_e64 v42, -v128, s6                               // 00000000A31C: D105002A 20000D80
	v_mul_f32_e64 v43, -v129, s6                               // 00000000A324: D105002B 20000D81
	v_mul_f32_e64 v44, -v130, s6                               // 00000000A32C: D105002C 20000D82
	v_mul_f32_e64 v45, -v131, s6                               // 00000000A334: D105002D 20000D83
	v_exp_f32_e32 v42, v42                                     // 00000000A33C: 7E54412A
	v_exp_f32_e32 v43, v43                                     // 00000000A340: 7E56412B
	v_exp_f32_e32 v44, v44                                     // 00000000A344: 7E58412C
	v_exp_f32_e32 v45, v45                                     // 00000000A348: 7E5A412D
	buffer_load_dwordx4 a[4:7], v47, s[12:15], 0 offen         // 00000000A34C: E05C1000 8083042F
	v_add_f32_e64 v42, v42, 1.0                                // 00000000A354: D101002A 0001E52A
	v_add_f32_e64 v43, v43, 1.0                                // 00000000A35C: D101002B 0001E52B
	v_add_f32_e64 v44, v44, 1.0                                // 00000000A364: D101002C 0001E52C
	v_add_f32_e64 v45, v45, 1.0                                // 00000000A36C: D101002D 0001E52D
	v_rcp_f32_e32 v42, v42                                     // 00000000A374: 7E54452A
	v_rcp_f32_e32 v43, v43                                     // 00000000A378: 7E56452B
	v_rcp_f32_e32 v44, v44                                     // 00000000A37C: 7E58452C
	v_rcp_f32_e32 v45, v45                                     // 00000000A380: 7E5A452D
	v_pk_mul_f32 v[128:129], v[128:129], v[42:43]              // 00000000A384: D3B14080 18025580
	v_pk_mul_f32 v[130:131], v[130:131], v[44:45]              // 00000000A38C: D3B14082 18025982
	v_pk_mul_f32 v[128:129], v[128:129], v[64:65]              // 00000000A394: D3B14080 18028180
	v_pk_mul_f32 v[130:131], v[130:131], v[66:67]              // 00000000A39C: D3B14082 18028582
	buffer_load_dwordx4 a[8:11], v48, s[12:15], 0 offen        // 00000000A3A4: E05C1000 80830830
	v_mul_f32_e64 v42, -v132, s6                               // 00000000A3AC: D105002A 20000D84
	v_mul_f32_e64 v43, -v133, s6                               // 00000000A3B4: D105002B 20000D85
	v_mul_f32_e64 v44, -v134, s6                               // 00000000A3BC: D105002C 20000D86
	v_mul_f32_e64 v45, -v135, s6                               // 00000000A3C4: D105002D 20000D87
	v_exp_f32_e32 v42, v42                                     // 00000000A3CC: 7E54412A
	v_exp_f32_e32 v43, v43                                     // 00000000A3D0: 7E56412B
	v_exp_f32_e32 v44, v44                                     // 00000000A3D4: 7E58412C
	v_exp_f32_e32 v45, v45                                     // 00000000A3D8: 7E5A412D
	buffer_load_dwordx4 a[12:15], v49, s[12:15], 0 offen       // 00000000A3DC: E05C1000 80830C31
	s_add_u32 s12, s78, s12                                    // 00000000A3E4: 800C0C4E
	s_addc_u32 s13, 0, s13                                     // 00000000A3E8: 820D0D80
	v_add_f32_e64 v42, v42, 1.0                                // 00000000A3EC: D101002A 0001E52A
	v_add_f32_e64 v43, v43, 1.0                                // 00000000A3F4: D101002B 0001E52B
	v_add_f32_e64 v44, v44, 1.0                                // 00000000A3FC: D101002C 0001E52C
	v_add_f32_e64 v45, v45, 1.0                                // 00000000A404: D101002D 0001E52D
	v_rcp_f32_e32 v42, v42                                     // 00000000A40C: 7E54452A
	v_rcp_f32_e32 v43, v43                                     // 00000000A410: 7E56452B
	v_rcp_f32_e32 v44, v44                                     // 00000000A414: 7E58452C
	v_rcp_f32_e32 v45, v45                                     // 00000000A418: 7E5A452D
	v_pk_mul_f32 v[132:133], v[132:133], v[42:43]              // 00000000A41C: D3B14084 18025584
	v_pk_mul_f32 v[134:135], v[134:135], v[44:45]              // 00000000A424: D3B14086 18025986
	v_pk_mul_f32 v[132:133], v[132:133], v[68:69]              // 00000000A42C: D3B14084 18028984
	v_pk_mul_f32 v[134:135], v[134:135], v[70:71]              // 00000000A434: D3B14086 18028D86
	s_waitcnt vmcnt(16)                                        // 00000000A43C: BF8C4F70
	buffer_load_dwordx4 a[16:19], v46, s[12:15], 0 offen       // 00000000A440: E05C1000 8083102E
	v_mul_f32_e64 v42, -v136, s6                               // 00000000A448: D105002A 20000D88
	v_mul_f32_e64 v43, -v137, s6                               // 00000000A450: D105002B 20000D89
	v_mul_f32_e64 v44, -v138, s6                               // 00000000A458: D105002C 20000D8A
	v_mul_f32_e64 v45, -v139, s6                               // 00000000A460: D105002D 20000D8B
	v_exp_f32_e32 v42, v42                                     // 00000000A468: 7E54412A
	v_exp_f32_e32 v43, v43                                     // 00000000A46C: 7E56412B
	v_exp_f32_e32 v44, v44                                     // 00000000A470: 7E58412C
	v_exp_f32_e32 v45, v45                                     // 00000000A474: 7E5A412D
	buffer_load_dwordx4 a[20:23], v47, s[12:15], 0 offen       // 00000000A478: E05C1000 8083142F
	v_add_f32_e64 v42, v42, 1.0                                // 00000000A480: D101002A 0001E52A
	v_add_f32_e64 v43, v43, 1.0                                // 00000000A488: D101002B 0001E52B
	v_add_f32_e64 v44, v44, 1.0                                // 00000000A490: D101002C 0001E52C
	v_add_f32_e64 v45, v45, 1.0                                // 00000000A498: D101002D 0001E52D
	v_rcp_f32_e32 v42, v42                                     // 00000000A4A0: 7E54452A
	v_rcp_f32_e32 v43, v43                                     // 00000000A4A4: 7E56452B
	v_rcp_f32_e32 v44, v44                                     // 00000000A4A8: 7E58452C
	v_rcp_f32_e32 v45, v45                                     // 00000000A4AC: 7E5A452D
	v_pk_mul_f32 v[136:137], v[136:137], v[42:43]              // 00000000A4B0: D3B14088 18025588
	v_pk_mul_f32 v[138:139], v[138:139], v[44:45]              // 00000000A4B8: D3B1408A 1802598A
	v_pk_mul_f32 v[136:137], v[136:137], v[72:73]              // 00000000A4C0: D3B14088 18029188
	v_pk_mul_f32 v[138:139], v[138:139], v[74:75]              // 00000000A4C8: D3B1408A 1802958A
	buffer_load_dwordx4 a[24:27], v48, s[12:15], 0 offen       // 00000000A4D0: E05C1000 80831830
	v_mul_f32_e64 v42, -v140, s6                               // 00000000A4D8: D105002A 20000D8C
	v_mul_f32_e64 v43, -v141, s6                               // 00000000A4E0: D105002B 20000D8D
	v_mul_f32_e64 v44, -v142, s6                               // 00000000A4E8: D105002C 20000D8E
	v_mul_f32_e64 v45, -v143, s6                               // 00000000A4F0: D105002D 20000D8F
	v_exp_f32_e32 v42, v42                                     // 00000000A4F8: 7E54412A
	v_exp_f32_e32 v43, v43                                     // 00000000A4FC: 7E56412B
	v_exp_f32_e32 v44, v44                                     // 00000000A500: 7E58412C
	v_exp_f32_e32 v45, v45                                     // 00000000A504: 7E5A412D
	buffer_load_dwordx4 a[28:31], v49, s[12:15], 0 offen       // 00000000A508: E05C1000 80831C31
	s_add_u32 s12, s78, s12                                    // 00000000A510: 800C0C4E
	s_addc_u32 s13, 0, s13                                     // 00000000A514: 820D0D80
	v_add_f32_e64 v42, v42, 1.0                                // 00000000A518: D101002A 0001E52A
	v_add_f32_e64 v43, v43, 1.0                                // 00000000A520: D101002B 0001E52B
	v_add_f32_e64 v44, v44, 1.0                                // 00000000A528: D101002C 0001E52C
	v_add_f32_e64 v45, v45, 1.0                                // 00000000A530: D101002D 0001E52D
	v_rcp_f32_e32 v42, v42                                     // 00000000A538: 7E54452A
	v_rcp_f32_e32 v43, v43                                     // 00000000A53C: 7E56452B
	v_rcp_f32_e32 v44, v44                                     // 00000000A540: 7E58452C
	v_rcp_f32_e32 v45, v45                                     // 00000000A544: 7E5A452D
	v_pk_mul_f32 v[140:141], v[140:141], v[42:43]              // 00000000A548: D3B1408C 1802558C
	v_pk_mul_f32 v[142:143], v[142:143], v[44:45]              // 00000000A550: D3B1408E 1802598E
	v_pk_mul_f32 v[140:141], v[140:141], v[76:77]              // 00000000A558: D3B1408C 1802998C
	v_pk_mul_f32 v[142:143], v[142:143], v[78:79]              // 00000000A560: D3B1408E 18029D8E
	s_waitcnt vmcnt(16)                                        // 00000000A568: BF8C4F70
	buffer_load_dwordx4 a[32:35], v46, s[12:15], 0 offen       // 00000000A56C: E05C1000 8083202E
	v_mul_f32_e64 v42, -v144, s6                               // 00000000A574: D105002A 20000D90
	v_mul_f32_e64 v43, -v145, s6                               // 00000000A57C: D105002B 20000D91
	v_mul_f32_e64 v44, -v146, s6                               // 00000000A584: D105002C 20000D92
	v_mul_f32_e64 v45, -v147, s6                               // 00000000A58C: D105002D 20000D93
	v_exp_f32_e32 v42, v42                                     // 00000000A594: 7E54412A
	v_exp_f32_e32 v43, v43                                     // 00000000A598: 7E56412B
	v_exp_f32_e32 v44, v44                                     // 00000000A59C: 7E58412C
	v_exp_f32_e32 v45, v45                                     // 00000000A5A0: 7E5A412D
	buffer_load_dwordx4 a[36:39], v47, s[12:15], 0 offen       // 00000000A5A4: E05C1000 8083242F
	v_add_f32_e64 v42, v42, 1.0                                // 00000000A5AC: D101002A 0001E52A
	v_add_f32_e64 v43, v43, 1.0                                // 00000000A5B4: D101002B 0001E52B
	v_add_f32_e64 v44, v44, 1.0                                // 00000000A5BC: D101002C 0001E52C
	v_add_f32_e64 v45, v45, 1.0                                // 00000000A5C4: D101002D 0001E52D
	v_rcp_f32_e32 v42, v42                                     // 00000000A5CC: 7E54452A
	v_rcp_f32_e32 v43, v43                                     // 00000000A5D0: 7E56452B
	v_rcp_f32_e32 v44, v44                                     // 00000000A5D4: 7E58452C
	v_rcp_f32_e32 v45, v45                                     // 00000000A5D8: 7E5A452D
	v_pk_mul_f32 v[144:145], v[144:145], v[42:43]              // 00000000A5DC: D3B14090 18025590
	v_pk_mul_f32 v[146:147], v[146:147], v[44:45]              // 00000000A5E4: D3B14092 18025992
	v_pk_mul_f32 v[144:145], v[144:145], v[80:81]              // 00000000A5EC: D3B14090 1802A190
	v_pk_mul_f32 v[146:147], v[146:147], v[82:83]              // 00000000A5F4: D3B14092 1802A592
	buffer_load_dwordx4 a[40:43], v48, s[12:15], 0 offen       // 00000000A5FC: E05C1000 80832830
	v_mul_f32_e64 v42, -v148, s6                               // 00000000A604: D105002A 20000D94
	v_mul_f32_e64 v43, -v149, s6                               // 00000000A60C: D105002B 20000D95
	v_mul_f32_e64 v44, -v150, s6                               // 00000000A614: D105002C 20000D96
	v_mul_f32_e64 v45, -v151, s6                               // 00000000A61C: D105002D 20000D97
	v_exp_f32_e32 v42, v42                                     // 00000000A624: 7E54412A
	v_exp_f32_e32 v43, v43                                     // 00000000A628: 7E56412B
	v_exp_f32_e32 v44, v44                                     // 00000000A62C: 7E58412C
	v_exp_f32_e32 v45, v45                                     // 00000000A630: 7E5A412D
	buffer_load_dwordx4 a[44:47], v49, s[12:15], 0 offen       // 00000000A634: E05C1000 80832C31
	s_add_u32 s12, s78, s12                                    // 00000000A63C: 800C0C4E
	s_addc_u32 s13, 0, s13                                     // 00000000A640: 820D0D80
	v_add_f32_e64 v42, v42, 1.0                                // 00000000A644: D101002A 0001E52A
	v_add_f32_e64 v43, v43, 1.0                                // 00000000A64C: D101002B 0001E52B
	v_add_f32_e64 v44, v44, 1.0                                // 00000000A654: D101002C 0001E52C
	v_add_f32_e64 v45, v45, 1.0                                // 00000000A65C: D101002D 0001E52D
	v_rcp_f32_e32 v42, v42                                     // 00000000A664: 7E54452A
	v_rcp_f32_e32 v43, v43                                     // 00000000A668: 7E56452B
	v_rcp_f32_e32 v44, v44                                     // 00000000A66C: 7E58452C
	v_rcp_f32_e32 v45, v45                                     // 00000000A670: 7E5A452D
	v_pk_mul_f32 v[148:149], v[148:149], v[42:43]              // 00000000A674: D3B14094 18025594
	v_pk_mul_f32 v[150:151], v[150:151], v[44:45]              // 00000000A67C: D3B14096 18025996
	v_pk_mul_f32 v[148:149], v[148:149], v[84:85]              // 00000000A684: D3B14094 1802A994
	v_pk_mul_f32 v[150:151], v[150:151], v[86:87]              // 00000000A68C: D3B14096 1802AD96
	s_waitcnt vmcnt(16)                                        // 00000000A694: BF8C4F70
	buffer_load_dwordx4 a[48:51], v46, s[12:15], 0 offen       // 00000000A698: E05C1000 8083302E
	v_mul_f32_e64 v42, -v152, s6                               // 00000000A6A0: D105002A 20000D98
	v_mul_f32_e64 v43, -v153, s6                               // 00000000A6A8: D105002B 20000D99
	v_mul_f32_e64 v44, -v154, s6                               // 00000000A6B0: D105002C 20000D9A
	v_mul_f32_e64 v45, -v155, s6                               // 00000000A6B8: D105002D 20000D9B
	v_exp_f32_e32 v42, v42                                     // 00000000A6C0: 7E54412A
	v_exp_f32_e32 v43, v43                                     // 00000000A6C4: 7E56412B
	v_exp_f32_e32 v44, v44                                     // 00000000A6C8: 7E58412C
	v_exp_f32_e32 v45, v45                                     // 00000000A6CC: 7E5A412D
	buffer_load_dwordx4 a[52:55], v47, s[12:15], 0 offen       // 00000000A6D0: E05C1000 8083342F
	v_add_f32_e64 v42, v42, 1.0                                // 00000000A6D8: D101002A 0001E52A
	v_add_f32_e64 v43, v43, 1.0                                // 00000000A6E0: D101002B 0001E52B
	v_add_f32_e64 v44, v44, 1.0                                // 00000000A6E8: D101002C 0001E52C
	v_add_f32_e64 v45, v45, 1.0                                // 00000000A6F0: D101002D 0001E52D
	v_rcp_f32_e32 v42, v42                                     // 00000000A6F8: 7E54452A
	v_rcp_f32_e32 v43, v43                                     // 00000000A6FC: 7E56452B
	v_rcp_f32_e32 v44, v44                                     // 00000000A700: 7E58452C
	v_rcp_f32_e32 v45, v45                                     // 00000000A704: 7E5A452D
	v_pk_mul_f32 v[152:153], v[152:153], v[42:43]              // 00000000A708: D3B14098 18025598
	v_pk_mul_f32 v[154:155], v[154:155], v[44:45]              // 00000000A710: D3B1409A 1802599A
	v_pk_mul_f32 v[152:153], v[152:153], v[88:89]              // 00000000A718: D3B14098 1802B198
	v_pk_mul_f32 v[154:155], v[154:155], v[90:91]              // 00000000A720: D3B1409A 1802B59A
	buffer_load_dwordx4 a[56:59], v48, s[12:15], 0 offen       // 00000000A728: E05C1000 80833830
	v_mul_f32_e64 v42, -v156, s6                               // 00000000A730: D105002A 20000D9C
	v_mul_f32_e64 v43, -v157, s6                               // 00000000A738: D105002B 20000D9D
	v_mul_f32_e64 v44, -v158, s6                               // 00000000A740: D105002C 20000D9E
	v_mul_f32_e64 v45, -v159, s6                               // 00000000A748: D105002D 20000D9F
	v_exp_f32_e32 v42, v42                                     // 00000000A750: 7E54412A
	v_exp_f32_e32 v43, v43                                     // 00000000A754: 7E56412B
	v_exp_f32_e32 v44, v44                                     // 00000000A758: 7E58412C
	v_exp_f32_e32 v45, v45                                     // 00000000A75C: 7E5A412D
	buffer_load_dwordx4 a[60:63], v49, s[12:15], 0 offen       // 00000000A760: E05C1000 80833C31
	s_add_u32 s12, s78, s12                                    // 00000000A768: 800C0C4E
	s_addc_u32 s13, 0, s13                                     // 00000000A76C: 820D0D80
	v_add_f32_e64 v42, v42, 1.0                                // 00000000A770: D101002A 0001E52A
	v_add_f32_e64 v43, v43, 1.0                                // 00000000A778: D101002B 0001E52B
	v_add_f32_e64 v44, v44, 1.0                                // 00000000A780: D101002C 0001E52C
	v_add_f32_e64 v45, v45, 1.0                                // 00000000A788: D101002D 0001E52D
	v_rcp_f32_e32 v42, v42                                     // 00000000A790: 7E54452A
	v_rcp_f32_e32 v43, v43                                     // 00000000A794: 7E56452B
	v_rcp_f32_e32 v44, v44                                     // 00000000A798: 7E58452C
	v_rcp_f32_e32 v45, v45                                     // 00000000A79C: 7E5A452D
	v_pk_mul_f32 v[156:157], v[156:157], v[42:43]              // 00000000A7A0: D3B1409C 1802559C
	v_pk_mul_f32 v[158:159], v[158:159], v[44:45]              // 00000000A7A8: D3B1409E 1802599E
	v_pk_mul_f32 v[156:157], v[156:157], v[92:93]              // 00000000A7B0: D3B1409C 1802B99C
	v_pk_mul_f32 v[158:159], v[158:159], v[94:95]              // 00000000A7B8: D3B1409E 1802BD9E
	s_waitcnt vmcnt(16)                                        // 00000000A7C0: BF8C4F70
	buffer_load_dwordx4 a[64:67], v46, s[12:15], 0 offen       // 00000000A7C4: E05C1000 8083402E
	v_mul_f32_e64 v42, -v160, s6                               // 00000000A7CC: D105002A 20000DA0
	v_mul_f32_e64 v43, -v161, s6                               // 00000000A7D4: D105002B 20000DA1
	v_mul_f32_e64 v44, -v162, s6                               // 00000000A7DC: D105002C 20000DA2
	v_mul_f32_e64 v45, -v163, s6                               // 00000000A7E4: D105002D 20000DA3
	v_exp_f32_e32 v42, v42                                     // 00000000A7EC: 7E54412A
	v_exp_f32_e32 v43, v43                                     // 00000000A7F0: 7E56412B
	v_exp_f32_e32 v44, v44                                     // 00000000A7F4: 7E58412C
	v_exp_f32_e32 v45, v45                                     // 00000000A7F8: 7E5A412D
	buffer_load_dwordx4 a[68:71], v47, s[12:15], 0 offen       // 00000000A7FC: E05C1000 8083442F
	v_add_f32_e64 v42, v42, 1.0                                // 00000000A804: D101002A 0001E52A
	v_add_f32_e64 v43, v43, 1.0                                // 00000000A80C: D101002B 0001E52B
	v_add_f32_e64 v44, v44, 1.0                                // 00000000A814: D101002C 0001E52C
	v_add_f32_e64 v45, v45, 1.0                                // 00000000A81C: D101002D 0001E52D
	v_rcp_f32_e32 v42, v42                                     // 00000000A824: 7E54452A
	v_rcp_f32_e32 v43, v43                                     // 00000000A828: 7E56452B
	v_rcp_f32_e32 v44, v44                                     // 00000000A82C: 7E58452C
	v_rcp_f32_e32 v45, v45                                     // 00000000A830: 7E5A452D
	v_pk_mul_f32 v[160:161], v[160:161], v[42:43]              // 00000000A834: D3B140A0 180255A0
	v_pk_mul_f32 v[162:163], v[162:163], v[44:45]              // 00000000A83C: D3B140A2 180259A2
	v_pk_mul_f32 v[160:161], v[160:161], v[96:97]              // 00000000A844: D3B140A0 1802C1A0
	v_pk_mul_f32 v[162:163], v[162:163], v[98:99]              // 00000000A84C: D3B140A2 1802C5A2
	buffer_load_dwordx4 a[72:75], v48, s[12:15], 0 offen       // 00000000A854: E05C1000 80834830
	v_mul_f32_e64 v42, -v164, s6                               // 00000000A85C: D105002A 20000DA4
	v_mul_f32_e64 v43, -v165, s6                               // 00000000A864: D105002B 20000DA5
	v_mul_f32_e64 v44, -v166, s6                               // 00000000A86C: D105002C 20000DA6
	v_mul_f32_e64 v45, -v167, s6                               // 00000000A874: D105002D 20000DA7
	v_exp_f32_e32 v42, v42                                     // 00000000A87C: 7E54412A
	v_exp_f32_e32 v43, v43                                     // 00000000A880: 7E56412B
	v_exp_f32_e32 v44, v44                                     // 00000000A884: 7E58412C
	v_exp_f32_e32 v45, v45                                     // 00000000A888: 7E5A412D
	buffer_load_dwordx4 a[76:79], v49, s[12:15], 0 offen       // 00000000A88C: E05C1000 80834C31
	v_add_f32_e64 v42, v42, 1.0                                // 00000000A894: D101002A 0001E52A
	v_add_f32_e64 v43, v43, 1.0                                // 00000000A89C: D101002B 0001E52B
	v_add_f32_e64 v44, v44, 1.0                                // 00000000A8A4: D101002C 0001E52C
	v_add_f32_e64 v45, v45, 1.0                                // 00000000A8AC: D101002D 0001E52D
	v_rcp_f32_e32 v42, v42                                     // 00000000A8B4: 7E54452A
	v_rcp_f32_e32 v43, v43                                     // 00000000A8B8: 7E56452B
	v_rcp_f32_e32 v44, v44                                     // 00000000A8BC: 7E58452C
	v_rcp_f32_e32 v45, v45                                     // 00000000A8C0: 7E5A452D
	v_pk_mul_f32 v[164:165], v[164:165], v[42:43]              // 00000000A8C4: D3B140A4 180255A4
	v_pk_mul_f32 v[166:167], v[166:167], v[44:45]              // 00000000A8CC: D3B140A6 180259A6
	v_pk_mul_f32 v[164:165], v[164:165], v[100:101]            // 00000000A8D4: D3B140A4 1802C9A4
	v_pk_mul_f32 v[166:167], v[166:167], v[102:103]            // 00000000A8DC: D3B140A6 1802CDA6
	v_mul_f32_dpp v128, v18, v128 row_newbcast:0 row_mask:0xf bank_mask:0xf// 00000000A8E4: 0B0100FA FF015012
	v_mul_f32_dpp v129, v18, v129 row_newbcast:1 row_mask:0xf bank_mask:0xf// 00000000A8EC: 0B0302FA FF015112
	v_mul_f32_dpp v130, v18, v130 row_newbcast:2 row_mask:0xf bank_mask:0xf// 00000000A8F4: 0B0504FA FF015212
	v_mul_f32_dpp v131, v18, v131 row_newbcast:3 row_mask:0xf bank_mask:0xf// 00000000A8FC: 0B0706FA FF015312
	v_mul_f32_dpp v132, v18, v132 row_newbcast:0 row_mask:0xf bank_mask:0xf// 00000000A904: 0B0908FA FF015012
	v_mul_f32_dpp v133, v18, v133 row_newbcast:1 row_mask:0xf bank_mask:0xf// 00000000A90C: 0B0B0AFA FF015112
	v_mul_f32_dpp v134, v18, v134 row_newbcast:2 row_mask:0xf bank_mask:0xf// 00000000A914: 0B0D0CFA FF015212
	v_mul_f32_dpp v135, v18, v135 row_newbcast:3 row_mask:0xf bank_mask:0xf// 00000000A91C: 0B0F0EFA FF015312
	v_mul_f32_dpp v136, v18, v136 row_newbcast:4 row_mask:0xf bank_mask:0xf// 00000000A924: 0B1110FA FF015412
	v_mul_f32_dpp v137, v18, v137 row_newbcast:5 row_mask:0xf bank_mask:0xf// 00000000A92C: 0B1312FA FF015512
	v_mul_f32_dpp v138, v18, v138 row_newbcast:6 row_mask:0xf bank_mask:0xf// 00000000A934: 0B1514FA FF015612
	v_mul_f32_dpp v139, v18, v139 row_newbcast:7 row_mask:0xf bank_mask:0xf// 00000000A93C: 0B1716FA FF015712
	v_mul_f32_dpp v140, v18, v140 row_newbcast:4 row_mask:0xf bank_mask:0xf// 00000000A944: 0B1918FA FF015412
	v_mul_f32_dpp v141, v18, v141 row_newbcast:5 row_mask:0xf bank_mask:0xf// 00000000A94C: 0B1B1AFA FF015512
	v_mul_f32_dpp v142, v18, v142 row_newbcast:6 row_mask:0xf bank_mask:0xf// 00000000A954: 0B1D1CFA FF015612
	v_mul_f32_dpp v143, v18, v143 row_newbcast:7 row_mask:0xf bank_mask:0xf// 00000000A95C: 0B1F1EFA FF015712
	v_mul_f32_dpp v144, v18, v144 row_newbcast:8 row_mask:0xf bank_mask:0xf// 00000000A964: 0B2120FA FF015812
	v_mul_f32_dpp v145, v18, v145 row_newbcast:9 row_mask:0xf bank_mask:0xf// 00000000A96C: 0B2322FA FF015912
	v_mul_f32_dpp v146, v18, v146 row_newbcast:10 row_mask:0xf bank_mask:0xf// 00000000A974: 0B2524FA FF015A12
	v_mul_f32_dpp v147, v18, v147 row_newbcast:11 row_mask:0xf bank_mask:0xf// 00000000A97C: 0B2726FA FF015B12
	v_mul_f32_dpp v148, v18, v148 row_newbcast:8 row_mask:0xf bank_mask:0xf// 00000000A984: 0B2928FA FF015812
	v_mul_f32_dpp v149, v18, v149 row_newbcast:9 row_mask:0xf bank_mask:0xf// 00000000A98C: 0B2B2AFA FF015912
	v_mul_f32_dpp v150, v18, v150 row_newbcast:10 row_mask:0xf bank_mask:0xf// 00000000A994: 0B2D2CFA FF015A12
	v_mul_f32_dpp v151, v18, v151 row_newbcast:11 row_mask:0xf bank_mask:0xf// 00000000A99C: 0B2F2EFA FF015B12
	v_mul_f32_dpp v152, v18, v152 row_newbcast:12 row_mask:0xf bank_mask:0xf// 00000000A9A4: 0B3130FA FF015C12
	v_mul_f32_dpp v153, v18, v153 row_newbcast:13 row_mask:0xf bank_mask:0xf// 00000000A9AC: 0B3332FA FF015D12
	v_mul_f32_dpp v154, v18, v154 row_newbcast:14 row_mask:0xf bank_mask:0xf// 00000000A9B4: 0B3534FA FF015E12
	v_mul_f32_dpp v155, v18, v155 row_newbcast:15 row_mask:0xf bank_mask:0xf// 00000000A9BC: 0B3736FA FF015F12
	v_mul_f32_dpp v156, v18, v156 row_newbcast:12 row_mask:0xf bank_mask:0xf// 00000000A9C4: 0B3938FA FF015C12
	v_mul_f32_dpp v157, v18, v157 row_newbcast:13 row_mask:0xf bank_mask:0xf// 00000000A9CC: 0B3B3AFA FF015D12
	v_mul_f32_dpp v158, v18, v158 row_newbcast:14 row_mask:0xf bank_mask:0xf// 00000000A9D4: 0B3D3CFA FF015E12
	v_mul_f32_dpp v159, v18, v159 row_newbcast:15 row_mask:0xf bank_mask:0xf// 00000000A9DC: 0B3F3EFA FF015F12
	v_mul_f32_dpp v160, v19, v160 row_newbcast:0 row_mask:0xf bank_mask:0xf// 00000000A9E4: 0B4140FA FF015013
	v_mul_f32_dpp v161, v19, v161 row_newbcast:1 row_mask:0xf bank_mask:0xf// 00000000A9EC: 0B4342FA FF015113
	v_mul_f32_dpp v162, v19, v162 row_newbcast:2 row_mask:0xf bank_mask:0xf// 00000000A9F4: 0B4544FA FF015213
	v_mul_f32_dpp v163, v19, v163 row_newbcast:3 row_mask:0xf bank_mask:0xf// 00000000A9FC: 0B4746FA FF015313
	v_mul_f32_dpp v164, v19, v164 row_newbcast:0 row_mask:0xf bank_mask:0xf// 00000000AA04: 0B4948FA FF015013
	v_mul_f32_dpp v165, v19, v165 row_newbcast:1 row_mask:0xf bank_mask:0xf// 00000000AA0C: 0B4B4AFA FF015113
	v_mul_f32_dpp v166, v19, v166 row_newbcast:2 row_mask:0xf bank_mask:0xf// 00000000AA14: 0B4D4CFA FF015213
	v_mul_f32_dpp v167, v19, v167 row_newbcast:3 row_mask:0xf bank_mask:0xf// 00000000AA1C: 0B4F4EFA FF015313
	v_lshlrev_b32_e32 v42, 2, v0                               // 00000000AA24: 24540082
	s_mul_i32 s60, s82, s71                                    // 00000000AA28: 923C4752
	v_add_u32_e64 v80, v42, s60                                // 00000000AA2C: D1340050 0000792A
	v_mov_b32_e32 v81, 0                                       // 00000000AA34: 7EA20280
	s_mul_i32 s60, s83, s71                                    // 00000000AA38: 923C4753
	v_add_u32_e64 v82, v42, s60                                // 00000000AA3C: D1340052 0000792A
	v_mov_b32_e32 v83, 0                                       // 00000000AA44: 7EA60280
	s_mul_i32 s60, s84, s71                                    // 00000000AA48: 923C4754
	v_add_u32_e64 v84, v42, s60                                // 00000000AA4C: D1340054 0000792A
	v_mov_b32_e32 v85, 0                                       // 00000000AA54: 7EAA0280
	s_mul_i32 s60, s85, s71                                    // 00000000AA58: 923C4755
	v_add_u32_e64 v86, v42, s60                                // 00000000AA5C: D1340056 0000792A
	v_mov_b32_e32 v87, 0                                       // 00000000AA64: 7EAE0280
	s_mul_i32 s60, s86, s71                                    // 00000000AA68: 923C4756
	v_add_u32_e64 v88, v42, s60                                // 00000000AA6C: D1340058 0000792A
	v_mov_b32_e32 v89, 0                                       // 00000000AA74: 7EB20280
	s_mul_i32 s60, s87, s71                                    // 00000000AA78: 923C4757
	v_add_u32_e64 v90, v42, s60                                // 00000000AA7C: D134005A 0000792A
	v_mov_b32_e32 v91, 0                                       // 00000000AA84: 7EB60280
	s_mul_i32 s60, s88, s71                                    // 00000000AA88: 923C4758
	v_add_u32_e64 v92, v42, s60                                // 00000000AA8C: D134005C 0000792A
	v_mov_b32_e32 v93, 0                                       // 00000000AA94: 7EBA0280
	s_mul_i32 s60, s89, s71                                    // 00000000AA98: 923C4759
	v_add_u32_e64 v94, v42, s60                                // 00000000AA9C: D134005E 0000792A
	v_mov_b32_e32 v95, 0                                       // 00000000AAA4: 7EBE0280
	buffer_load_dword v12, v5, s[16:19], 0 offen               // 00000000AAA8: E0501000 80040C05
	v_mov_b32_e32 v22, 0x358637bd                              // 00000000AAB0: 7E2C02FF 358637BD
	v_mov_b32_e32 v23, 0x358637bd                              // 00000000AAB8: 7E2E02FF 358637BD
	v_max3_f32 v22, |v128|, |v129|, v22                        // 00000000AAC0: D1D30316 045B0380
	v_max3_f32 v22, |v130|, |v131|, v22                        // 00000000AAC8: D1D30316 045B0782
	v_max3_f32 v23, |v132|, |v133|, v23                        // 00000000AAD0: D1D30317 045F0B84
	v_max3_f32 v23, |v134|, |v135|, v23                        // 00000000AAD8: D1D30317 045F0F86
	v_max3_f32 v22, |v136|, |v137|, v22                        // 00000000AAE0: D1D30316 045B1388
	v_max3_f32 v22, |v138|, |v139|, v22                        // 00000000AAE8: D1D30316 045B178A
	v_max3_f32 v23, |v140|, |v141|, v23                        // 00000000AAF0: D1D30317 045F1B8C
	v_max3_f32 v23, |v142|, |v143|, v23                        // 00000000AAF8: D1D30317 045F1F8E
	v_max3_f32 v22, |v144|, |v145|, v22                        // 00000000AB00: D1D30316 045B2390
	v_max3_f32 v22, |v146|, |v147|, v22                        // 00000000AB08: D1D30316 045B2792
	v_max3_f32 v23, |v148|, |v149|, v23                        // 00000000AB10: D1D30317 045F2B94
	v_max3_f32 v23, |v150|, |v151|, v23                        // 00000000AB18: D1D30317 045F2F96
	v_max3_f32 v22, |v152|, |v153|, v22                        // 00000000AB20: D1D30316 045B3398
	v_max3_f32 v22, |v154|, |v155|, v22                        // 00000000AB28: D1D30316 045B379A
	v_max3_f32 v23, |v156|, |v157|, v23                        // 00000000AB30: D1D30317 045F3B9C
	v_max3_f32 v23, |v158|, |v159|, v23                        // 00000000AB38: D1D30317 045F3F9E
	v_max3_f32 v22, |v160|, |v161|, v22                        // 00000000AB40: D1D30316 045B43A0
	v_max3_f32 v22, |v162|, |v163|, v22                        // 00000000AB48: D1D30316 045B47A2
	v_max3_f32 v23, |v164|, |v165|, v23                        // 00000000AB50: D1D30317 045F4BA4
	v_max3_f32 v23, |v166|, |v167|, v23                        // 00000000AB58: D1D30317 045F4FA6
	v_lshlrev_b32_e32 v42, 3, v0                               // 00000000AB60: 24540083
	s_mul_i32 s60, 0x200, s5                                   // 00000000AB64: 923C05FF 00000200
	v_add_u32_e32 v42, s60, v42                                // 00000000AB6C: 6854543C
	ds_write_b64 v42, v[22:23]                                 // 00000000AB70: D89A0000 0000162A
	s_waitcnt lgkmcnt(0)                                       // 00000000AB78: BF8CC07F
	s_barrier                                                  // 00000000AB7C: BF8A0000
	v_and_b32_e32 v42, 15, v0                                  // 00000000AB80: 2654008F
	v_lshlrev_b32_e32 v42, 3, v42                              // 00000000AB84: 24545483
	ds_read_b64 v[96:97], v42                                  // 00000000AB88: D8EC0000 6000002A
	ds_read_b64 v[98:99], v42 offset:128                       // 00000000AB90: D8EC0080 6200002A
	ds_read_b64 v[100:101], v42 offset:256                     // 00000000AB98: D8EC0100 6400002A
	ds_read_b64 v[102:103], v42 offset:384                     // 00000000ABA0: D8EC0180 6600002A
	ds_read_b64 v[104:105], v42 offset:512                     // 00000000ABA8: D8EC0200 6800002A
	ds_read_b64 v[106:107], v42 offset:640                     // 00000000ABB0: D8EC0280 6A00002A
	ds_read_b64 v[108:109], v42 offset:768                     // 00000000ABB8: D8EC0300 6C00002A
	ds_read_b64 v[110:111], v42 offset:896                     // 00000000ABC0: D8EC0380 6E00002A
	ds_read_b64 v[112:113], v42 offset:1024                    // 00000000ABC8: D8EC0400 7000002A
	ds_read_b64 v[114:115], v42 offset:1152                    // 00000000ABD0: D8EC0480 7200002A
	ds_read_b64 v[116:117], v42 offset:1280                    // 00000000ABD8: D8EC0500 7400002A
	ds_read_b64 v[118:119], v42 offset:1408                    // 00000000ABE0: D8EC0580 7600002A
	ds_read_b64 v[120:121], v42 offset:1536                    // 00000000ABE8: D8EC0600 7800002A
	ds_read_b64 v[122:123], v42 offset:1664                    // 00000000ABF0: D8EC0680 7A00002A
	ds_read_b64 v[124:125], v42 offset:1792                    // 00000000ABF8: D8EC0700 7C00002A
	ds_read_b64 v[126:127], v42 offset:1920                    // 00000000AC00: D8EC0780 7E00002A
	s_waitcnt lgkmcnt(0)                                       // 00000000AC08: BF8CC07F
	v_max3_f32 v22, |v96|, |v98|, v22                          // 00000000AC0C: D1D30316 045AC560
	v_max3_f32 v23, |v97|, |v99|, v23                          // 00000000AC14: D1D30317 045EC761
	v_max3_f32 v22, |v100|, |v102|, v22                        // 00000000AC1C: D1D30316 045ACD64
	v_max3_f32 v23, |v101|, |v103|, v23                        // 00000000AC24: D1D30317 045ECF65
	v_max3_f32 v22, |v104|, |v106|, v22                        // 00000000AC2C: D1D30316 045AD568
	v_max3_f32 v23, |v105|, |v107|, v23                        // 00000000AC34: D1D30317 045ED769
	v_max3_f32 v22, |v108|, |v110|, v22                        // 00000000AC3C: D1D30316 045ADD6C
	v_max3_f32 v23, |v109|, |v111|, v23                        // 00000000AC44: D1D30317 045EDF6D
	v_max3_f32 v22, |v112|, |v114|, v22                        // 00000000AC4C: D1D30316 045AE570
	v_max3_f32 v23, |v113|, |v115|, v23                        // 00000000AC54: D1D30317 045EE771
	v_max3_f32 v22, |v116|, |v118|, v22                        // 00000000AC5C: D1D30316 045AED74
	v_max3_f32 v23, |v117|, |v119|, v23                        // 00000000AC64: D1D30317 045EEF75
	v_max3_f32 v22, |v120|, |v122|, v22                        // 00000000AC6C: D1D30316 045AF578
	v_max3_f32 v23, |v121|, |v123|, v23                        // 00000000AC74: D1D30317 045EF779
	v_max3_f32 v22, |v124|, |v126|, v22                        // 00000000AC7C: D1D30316 045AFD7C
	v_max3_f32 v23, |v125|, |v127|, v23                        // 00000000AC84: D1D30317 045EFF7D
	v_rcp_f32_e32 v22, v22                                     // 00000000AC8C: 7E2C4516
	v_rcp_f32_e32 v23, v23                                     // 00000000AC90: 7E2E4517
	v_mov_b32_e32 v42, 0x43700000                              // 00000000AC94: 7E5402FF 43700000
	v_mul_f32_e32 v22, v42, v22                                // 00000000AC9C: 0A2C2D2A
	v_mul_f32_e32 v23, v42, v23                                // 00000000ACA0: 0A2E2F2A
	v_mul_f32_e32 v128, v22, v128                              // 00000000ACA4: 0B010116
	v_mul_f32_e32 v129, v22, v129                              // 00000000ACA8: 0B030316
	v_mul_f32_e32 v130, v22, v130                              // 00000000ACAC: 0B050516
	v_mul_f32_e32 v131, v22, v131                              // 00000000ACB0: 0B070716
	v_cvt_pk_fp8_f32 v128, v128, v129                          // 00000000ACB4: D2A20080 00030380
	v_cvt_pk_fp8_f32 v128, v130, v131 op_sel:[0,0,1]           // 00000000ACBC: D2A24080 00030782
	v_mul_f32_e32 v132, v23, v132                              // 00000000ACC4: 0B090917
	v_mul_f32_e32 v133, v23, v133                              // 00000000ACC8: 0B0B0B17
	v_mul_f32_e32 v134, v23, v134                              // 00000000ACCC: 0B0D0D17
	v_mul_f32_e32 v135, v23, v135                              // 00000000ACD0: 0B0F0F17
	v_cvt_pk_fp8_f32 v129, v132, v133                          // 00000000ACD4: D2A20081 00030B84
	v_cvt_pk_fp8_f32 v129, v134, v135 op_sel:[0,0,1]           // 00000000ACDC: D2A24081 00030F86
	v_mul_f32_e32 v136, v22, v136                              // 00000000ACE4: 0B111116
	v_mul_f32_e32 v137, v22, v137                              // 00000000ACE8: 0B131316
	v_mul_f32_e32 v138, v22, v138                              // 00000000ACEC: 0B151516
	v_mul_f32_e32 v139, v22, v139                              // 00000000ACF0: 0B171716
	v_cvt_pk_fp8_f32 v130, v136, v137                          // 00000000ACF4: D2A20082 00031388
	v_cvt_pk_fp8_f32 v130, v138, v139 op_sel:[0,0,1]           // 00000000ACFC: D2A24082 0003178A
	v_mul_f32_e32 v140, v23, v140                              // 00000000AD04: 0B191917
	v_mul_f32_e32 v141, v23, v141                              // 00000000AD08: 0B1B1B17
	v_mul_f32_e32 v142, v23, v142                              // 00000000AD0C: 0B1D1D17
	v_mul_f32_e32 v143, v23, v143                              // 00000000AD10: 0B1F1F17
	v_cvt_pk_fp8_f32 v131, v140, v141                          // 00000000AD14: D2A20083 00031B8C
	v_cvt_pk_fp8_f32 v131, v142, v143 op_sel:[0,0,1]           // 00000000AD1C: D2A24083 00031F8E
	v_mul_f32_e32 v144, v22, v144                              // 00000000AD24: 0B212116
	v_mul_f32_e32 v145, v22, v145                              // 00000000AD28: 0B232316
	v_mul_f32_e32 v146, v22, v146                              // 00000000AD2C: 0B252516
	v_mul_f32_e32 v147, v22, v147                              // 00000000AD30: 0B272716
	v_cvt_pk_fp8_f32 v132, v144, v145                          // 00000000AD34: D2A20084 00032390
	v_cvt_pk_fp8_f32 v132, v146, v147 op_sel:[0,0,1]           // 00000000AD3C: D2A24084 00032792
	v_mul_f32_e32 v148, v23, v148                              // 00000000AD44: 0B292917
	v_mul_f32_e32 v149, v23, v149                              // 00000000AD48: 0B2B2B17
	v_mul_f32_e32 v150, v23, v150                              // 00000000AD4C: 0B2D2D17
	v_mul_f32_e32 v151, v23, v151                              // 00000000AD50: 0B2F2F17
	v_cvt_pk_fp8_f32 v133, v148, v149                          // 00000000AD54: D2A20085 00032B94
	v_cvt_pk_fp8_f32 v133, v150, v151 op_sel:[0,0,1]           // 00000000AD5C: D2A24085 00032F96
	v_mul_f32_e32 v152, v22, v152                              // 00000000AD64: 0B313116
	v_mul_f32_e32 v153, v22, v153                              // 00000000AD68: 0B333316
	v_mul_f32_e32 v154, v22, v154                              // 00000000AD6C: 0B353516
	v_mul_f32_e32 v155, v22, v155                              // 00000000AD70: 0B373716
	v_cvt_pk_fp8_f32 v134, v152, v153                          // 00000000AD74: D2A20086 00033398
	v_cvt_pk_fp8_f32 v134, v154, v155 op_sel:[0,0,1]           // 00000000AD7C: D2A24086 0003379A
	v_mul_f32_e32 v156, v23, v156                              // 00000000AD84: 0B393917
	v_mul_f32_e32 v157, v23, v157                              // 00000000AD88: 0B3B3B17
	v_mul_f32_e32 v158, v23, v158                              // 00000000AD8C: 0B3D3D17
	v_mul_f32_e32 v159, v23, v159                              // 00000000AD90: 0B3F3F17
	v_cvt_pk_fp8_f32 v135, v156, v157                          // 00000000AD94: D2A20087 00033B9C
	v_cvt_pk_fp8_f32 v135, v158, v159 op_sel:[0,0,1]           // 00000000AD9C: D2A24087 00033F9E
	v_mul_f32_e32 v160, v22, v160                              // 00000000ADA4: 0B414116
	v_mul_f32_e32 v161, v22, v161                              // 00000000ADA8: 0B434316
	v_mul_f32_e32 v162, v22, v162                              // 00000000ADAC: 0B454516
	v_mul_f32_e32 v163, v22, v163                              // 00000000ADB0: 0B474716
	v_cvt_pk_fp8_f32 v136, v160, v161                          // 00000000ADB4: D2A20088 000343A0
	v_cvt_pk_fp8_f32 v136, v162, v163 op_sel:[0,0,1]           // 00000000ADBC: D2A24088 000347A2
	v_mul_f32_e32 v164, v23, v164                              // 00000000ADC4: 0B494917
	v_mul_f32_e32 v165, v23, v165                              // 00000000ADC8: 0B4B4B17
	v_mul_f32_e32 v166, v23, v166                              // 00000000ADCC: 0B4D4D17
	v_mul_f32_e32 v167, v23, v167                              // 00000000ADD0: 0B4F4F17
	v_cvt_pk_fp8_f32 v137, v164, v165                          // 00000000ADD4: D2A20089 00034BA4
	v_cvt_pk_fp8_f32 v137, v166, v167 op_sel:[0,0,1]           // 00000000ADDC: D2A24089 00034FA6
	v_rcp_f32_e32 v24, v22                                     // 00000000ADE4: 7E304516
	v_rcp_f32_e32 v25, v23                                     // 00000000ADE8: 7E324517
	v_lshrrev_b32_e32 v42, 5, v0                               // 00000000ADEC: 20540085
	v_lshlrev_b32_e32 v43, 5, v42                              // 00000000ADF0: 24565485
	v_and_b32_e32 v42, 31, v0                                  // 00000000ADF4: 2654009F
	v_lshrrev_b32_e32 v44, 4, v42                              // 00000000ADF8: 20585484
	v_add_u32_e32 v43, v44, v43                                // 00000000ADFC: 6856572C
	v_and_b32_e32 v42, 15, v0                                  // 00000000AE00: 2654008F
	v_lshlrev_b32_e32 v42, 1, v42                              // 00000000AE04: 24545481
	v_add_u32_e32 v43, v42, v43                                // 00000000AE08: 6856572A
	v_lshlrev_b32_e32 v42, 2, v43                              // 00000000AE0C: 24545682
	s_mul_i32 s60, 0x100, s5                                   // 00000000AE10: 923C05FF 00000100
	v_add_u32_e64 v42, v42, s60                                // 00000000AE18: D134002A 0000792A
	ds_write_b32 v42, v128 offset:2048                         // 00000000AE20: D81A0800 0000802A
	ds_write_b32 v42, v129 offset:7168                         // 00000000AE28: D81A1C00 0000812A
	ds_write_b32 v42, v130 offset:3072                         // 00000000AE30: D81A0C00 0000822A
	ds_write_b32 v42, v131 offset:8192                         // 00000000AE38: D81A2000 0000832A
	ds_write_b32 v42, v132 offset:4096                         // 00000000AE40: D81A1000 0000842A
	ds_write_b32 v42, v133 offset:9216                         // 00000000AE48: D81A2400 0000852A
	ds_write_b32 v42, v134 offset:5120                         // 00000000AE50: D81A1400 0000862A
	ds_write_b32 v42, v135 offset:10240                        // 00000000AE58: D81A2800 0000872A
	ds_write_b32 v42, v136 offset:6144                         // 00000000AE60: D81A1800 0000882A
	ds_write_b32 v42, v137 offset:11264                        // 00000000AE68: D81A2C00 0000892A
	s_waitcnt lgkmcnt(0)                                       // 00000000AE70: BF8CC07F
	s_barrier                                                  // 00000000AE74: BF8A0000
	v_lshrrev_b32_e32 v42, 4, v0                               // 00000000AE78: 20540084
	v_lshlrev_b32_e32 v43, 6, v42                              // 00000000AE7C: 24565486
	v_and_b32_e32 v42, 15, v0                                  // 00000000AE80: 2654008F
	v_lshlrev_b32_e32 v42, 1, v42                              // 00000000AE84: 24545481
	v_add_u32_e32 v43, v42, v43                                // 00000000AE88: 6856572A
	v_lshlrev_b32_e32 v42, 2, v43                              // 00000000AE8C: 24545682
	ds_read_b64 v[128:129], v42 offset:2048                    // 00000000AE90: D8EC0800 8000002A
	ds_read_b64 v[130:131], v42 offset:2176                    // 00000000AE98: D8EC0880 8200002A
	ds_read_b64 v[132:133], v42 offset:3072                    // 00000000AEA0: D8EC0C00 8400002A
	ds_read_b64 v[134:135], v42 offset:3200                    // 00000000AEA8: D8EC0C80 8600002A
	ds_read_b64 v[136:137], v42 offset:4096                    // 00000000AEB0: D8EC1000 8800002A
	ds_read_b64 v[138:139], v42 offset:4224                    // 00000000AEB8: D8EC1080 8A00002A
	ds_read_b64 v[140:141], v42 offset:5120                    // 00000000AEC0: D8EC1400 8C00002A
	ds_read_b64 v[142:143], v42 offset:5248                    // 00000000AEC8: D8EC1480 8E00002A
	ds_read_b64 v[144:145], v42 offset:6144                    // 00000000AED0: D8EC1800 9000002A
	ds_read_b64 v[146:147], v42 offset:6272                    // 00000000AED8: D8EC1880 9200002A
	ds_read_b64 v[148:149], v42 offset:7168                    // 00000000AEE0: D8EC1C00 9400002A
	ds_read_b64 v[150:151], v42 offset:7296                    // 00000000AEE8: D8EC1C80 9600002A
	ds_read_b64 v[152:153], v42 offset:8192                    // 00000000AEF0: D8EC2000 9800002A
	ds_read_b64 v[154:155], v42 offset:8320                    // 00000000AEF8: D8EC2080 9A00002A
	ds_read_b64 v[156:157], v42 offset:9216                    // 00000000AF00: D8EC2400 9C00002A
	ds_read_b64 v[158:159], v42 offset:9344                    // 00000000AF08: D8EC2480 9E00002A
	ds_read_b64 v[160:161], v42 offset:10240                   // 00000000AF10: D8EC2800 A000002A
	ds_read_b64 v[162:163], v42 offset:10368                   // 00000000AF18: D8EC2880 A200002A
	ds_read_b64 v[164:165], v42 offset:11264                   // 00000000AF20: D8EC2C00 A400002A
	ds_read_b64 v[166:167], v42 offset:11392                   // 00000000AF28: D8EC2C80 A600002A
	s_add_u32 s12, s56, s12                                    // 00000000AF30: 800C0C38
	s_addc_u32 s13, 0, s13                                     // 00000000AF34: 820D0D80
	s_add_u32 s16, s79, s16                                    // 00000000AF38: 8010104F
	s_addc_u32 s17, 0, s17                                     // 00000000AF3C: 82111180
	s_mov_b32 s80, 0                                           // 00000000AF40: BED00080
	s_waitcnt vmcnt(0) expcnt(0) lgkmcnt(0)                    // 00000000AF44: BF8C0000

000000000000af48 <label_2112>:
	s_waitcnt vmcnt(33)                                        // 00000000AF48: BF8C8F71
	s_barrier                                                  // 00000000AF4C: BF8A0000
	v_mfma_f32_16x16x32_fp8_fp8 v[168:171], a[0:1], v[128:129], 0// 00000000AF50: D3F300A8 0A030100
	buffer_load_dwordx4 a[80:83], v46, s[12:15], 0 offen       // 00000000AF58: E05C1000 8083502E
	v_mfma_f32_16x16x32_fp8_fp8 v[168:171], a[2:3], v[130:131], v[168:171]// 00000000AF60: D3F300A8 0EA30502
	v_mfma_f32_16x16x32_fp8_fp8 v[172:175], a[0:1], v[148:149], 0// 00000000AF68: D3F300AC 0A032900
	v_mfma_f32_16x16x32_fp8_fp8 v[172:175], a[2:3], v[150:151], v[172:175]// 00000000AF70: D3F300AC 0EB32D02
	v_mfma_f32_16x16x32_fp8_fp8 v[176:179], a[4:5], v[128:129], 0// 00000000AF78: D3F300B0 0A030104
	buffer_load_dwordx4 a[84:87], v47, s[12:15], 0 offen       // 00000000AF80: E05C1000 8083542F
	v_mfma_f32_16x16x32_fp8_fp8 v[176:179], a[6:7], v[130:131], v[176:179]// 00000000AF88: D3F300B0 0EC30506
	v_mfma_f32_16x16x32_fp8_fp8 v[180:183], a[4:5], v[148:149], 0// 00000000AF90: D3F300B4 0A032904
	v_mfma_f32_16x16x32_fp8_fp8 v[180:183], a[6:7], v[150:151], v[180:183]// 00000000AF98: D3F300B4 0ED32D06
	v_mfma_f32_16x16x32_fp8_fp8 v[184:187], a[8:9], v[128:129], 0// 00000000AFA0: D3F300B8 0A030108
	buffer_load_dwordx4 a[88:91], v48, s[12:15], 0 offen       // 00000000AFA8: E05C1000 80835830
	v_mfma_f32_16x16x32_fp8_fp8 v[184:187], a[10:11], v[130:131], v[184:187]// 00000000AFB0: D3F300B8 0EE3050A
	v_mfma_f32_16x16x32_fp8_fp8 v[188:191], a[8:9], v[148:149], 0// 00000000AFB8: D3F300BC 0A032908
	v_mfma_f32_16x16x32_fp8_fp8 v[188:191], a[10:11], v[150:151], v[188:191]// 00000000AFC0: D3F300BC 0EF32D0A
	v_mfma_f32_16x16x32_fp8_fp8 v[192:195], a[12:13], v[128:129], 0// 00000000AFC8: D3F300C0 0A03010C
	buffer_load_dwordx4 a[92:95], v49, s[12:15], 0 offen       // 00000000AFD0: E05C1000 80835C31
	s_add_u32 s12, s78, s12                                    // 00000000AFD8: 800C0C4E
	s_addc_u32 s13, 0, s13                                     // 00000000AFDC: 820D0D80
	v_mfma_f32_16x16x32_fp8_fp8 v[192:195], a[14:15], v[130:131], v[192:195]// 00000000AFE0: D3F300C0 0F03050E
	v_mfma_f32_16x16x32_fp8_fp8 v[196:199], a[12:13], v[148:149], 0// 00000000AFE8: D3F300C4 0A03290C
	v_mfma_f32_16x16x32_fp8_fp8 v[196:199], a[14:15], v[150:151], v[196:199]// 00000000AFF0: D3F300C4 0F132D0E
	s_waitcnt vmcnt(33)                                        // 00000000AFF8: BF8C8F71
	v_mfma_f32_16x16x32_fp8_fp8 v[168:171], a[16:17], v[132:133], v[168:171]// 00000000AFFC: D3F300A8 0EA30910
	buffer_load_dwordx4 a[96:99], v46, s[12:15], 0 offen       // 00000000B004: E05C1000 8083602E
	v_mfma_f32_16x16x32_fp8_fp8 v[168:171], a[18:19], v[134:135], v[168:171]// 00000000B00C: D3F300A8 0EA30D12
	v_mfma_f32_16x16x32_fp8_fp8 v[172:175], a[16:17], v[152:153], v[172:175]// 00000000B014: D3F300AC 0EB33110
	v_mfma_f32_16x16x32_fp8_fp8 v[172:175], a[18:19], v[154:155], v[172:175]// 00000000B01C: D3F300AC 0EB33512
	v_mfma_f32_16x16x32_fp8_fp8 v[176:179], a[20:21], v[132:133], v[176:179]// 00000000B024: D3F300B0 0EC30914
	buffer_load_dwordx4 a[100:103], v47, s[12:15], 0 offen     // 00000000B02C: E05C1000 8083642F
	v_mfma_f32_16x16x32_fp8_fp8 v[176:179], a[22:23], v[134:135], v[176:179]// 00000000B034: D3F300B0 0EC30D16
	v_mfma_f32_16x16x32_fp8_fp8 v[180:183], a[20:21], v[152:153], v[180:183]// 00000000B03C: D3F300B4 0ED33114
	v_mfma_f32_16x16x32_fp8_fp8 v[180:183], a[22:23], v[154:155], v[180:183]// 00000000B044: D3F300B4 0ED33516
	v_mfma_f32_16x16x32_fp8_fp8 v[184:187], a[24:25], v[132:133], v[184:187]// 00000000B04C: D3F300B8 0EE30918
	buffer_load_dwordx4 a[104:107], v48, s[12:15], 0 offen     // 00000000B054: E05C1000 80836830
	v_mfma_f32_16x16x32_fp8_fp8 v[184:187], a[26:27], v[134:135], v[184:187]// 00000000B05C: D3F300B8 0EE30D1A
	v_mfma_f32_16x16x32_fp8_fp8 v[188:191], a[24:25], v[152:153], v[188:191]// 00000000B064: D3F300BC 0EF33118
	v_mfma_f32_16x16x32_fp8_fp8 v[188:191], a[26:27], v[154:155], v[188:191]// 00000000B06C: D3F300BC 0EF3351A
	v_mfma_f32_16x16x32_fp8_fp8 v[192:195], a[28:29], v[132:133], v[192:195]// 00000000B074: D3F300C0 0F03091C
	buffer_load_dwordx4 a[108:111], v49, s[12:15], 0 offen     // 00000000B07C: E05C1000 80836C31
	s_add_u32 s12, s78, s12                                    // 00000000B084: 800C0C4E
	s_addc_u32 s13, 0, s13                                     // 00000000B088: 820D0D80
	v_mfma_f32_16x16x32_fp8_fp8 v[192:195], a[30:31], v[134:135], v[192:195]// 00000000B08C: D3F300C0 0F030D1E
	v_mfma_f32_16x16x32_fp8_fp8 v[196:199], a[28:29], v[152:153], v[196:199]// 00000000B094: D3F300C4 0F13311C
	v_mfma_f32_16x16x32_fp8_fp8 v[196:199], a[30:31], v[154:155], v[196:199]// 00000000B09C: D3F300C4 0F13351E
	s_waitcnt vmcnt(33)                                        // 00000000B0A4: BF8C8F71
	v_mfma_f32_16x16x32_fp8_fp8 v[168:171], a[32:33], v[136:137], v[168:171]// 00000000B0A8: D3F300A8 0EA31120
	buffer_load_dwordx4 a[112:115], v46, s[12:15], 0 offen     // 00000000B0B0: E05C1000 8083702E
	v_mfma_f32_16x16x32_fp8_fp8 v[168:171], a[34:35], v[138:139], v[168:171]// 00000000B0B8: D3F300A8 0EA31522
	v_mfma_f32_16x16x32_fp8_fp8 v[172:175], a[32:33], v[156:157], v[172:175]// 00000000B0C0: D3F300AC 0EB33920
	v_mfma_f32_16x16x32_fp8_fp8 v[172:175], a[34:35], v[158:159], v[172:175]// 00000000B0C8: D3F300AC 0EB33D22
	v_mfma_f32_16x16x32_fp8_fp8 v[176:179], a[36:37], v[136:137], v[176:179]// 00000000B0D0: D3F300B0 0EC31124
	buffer_load_dwordx4 a[116:119], v47, s[12:15], 0 offen     // 00000000B0D8: E05C1000 8083742F
	v_mfma_f32_16x16x32_fp8_fp8 v[176:179], a[38:39], v[138:139], v[176:179]// 00000000B0E0: D3F300B0 0EC31526
	v_mfma_f32_16x16x32_fp8_fp8 v[180:183], a[36:37], v[156:157], v[180:183]// 00000000B0E8: D3F300B4 0ED33924
	v_mfma_f32_16x16x32_fp8_fp8 v[180:183], a[38:39], v[158:159], v[180:183]// 00000000B0F0: D3F300B4 0ED33D26
	v_mfma_f32_16x16x32_fp8_fp8 v[184:187], a[40:41], v[136:137], v[184:187]// 00000000B0F8: D3F300B8 0EE31128
	buffer_load_dwordx4 a[120:123], v48, s[12:15], 0 offen     // 00000000B100: E05C1000 80837830
	v_mfma_f32_16x16x32_fp8_fp8 v[184:187], a[42:43], v[138:139], v[184:187]// 00000000B108: D3F300B8 0EE3152A
	v_mfma_f32_16x16x32_fp8_fp8 v[188:191], a[40:41], v[156:157], v[188:191]// 00000000B110: D3F300BC 0EF33928
	v_mfma_f32_16x16x32_fp8_fp8 v[188:191], a[42:43], v[158:159], v[188:191]// 00000000B118: D3F300BC 0EF33D2A
	v_mfma_f32_16x16x32_fp8_fp8 v[192:195], a[44:45], v[136:137], v[192:195]// 00000000B120: D3F300C0 0F03112C
	buffer_load_dwordx4 a[124:127], v49, s[12:15], 0 offen     // 00000000B128: E05C1000 80837C31
	s_add_u32 s12, s78, s12                                    // 00000000B130: 800C0C4E
	s_addc_u32 s13, 0, s13                                     // 00000000B134: 820D0D80
	v_mfma_f32_16x16x32_fp8_fp8 v[192:195], a[46:47], v[138:139], v[192:195]// 00000000B138: D3F300C0 0F03152E
	v_mfma_f32_16x16x32_fp8_fp8 v[196:199], a[44:45], v[156:157], v[196:199]// 00000000B140: D3F300C4 0F13392C
	v_mfma_f32_16x16x32_fp8_fp8 v[196:199], a[46:47], v[158:159], v[196:199]// 00000000B148: D3F300C4 0F133D2E
	s_waitcnt vmcnt(33)                                        // 00000000B150: BF8C8F71
	v_mfma_f32_16x16x32_fp8_fp8 v[168:171], a[48:49], v[140:141], v[168:171]// 00000000B154: D3F300A8 0EA31930
	buffer_load_dwordx4 a[128:131], v46, s[12:15], 0 offen     // 00000000B15C: E05C1000 8083802E
	v_mfma_f32_16x16x32_fp8_fp8 v[168:171], a[50:51], v[142:143], v[168:171]// 00000000B164: D3F300A8 0EA31D32
	v_mfma_f32_16x16x32_fp8_fp8 v[172:175], a[48:49], v[160:161], v[172:175]// 00000000B16C: D3F300AC 0EB34130
	v_mfma_f32_16x16x32_fp8_fp8 v[172:175], a[50:51], v[162:163], v[172:175]// 00000000B174: D3F300AC 0EB34532
	v_mfma_f32_16x16x32_fp8_fp8 v[176:179], a[52:53], v[140:141], v[176:179]// 00000000B17C: D3F300B0 0EC31934
	buffer_load_dwordx4 a[132:135], v47, s[12:15], 0 offen     // 00000000B184: E05C1000 8083842F
	v_mfma_f32_16x16x32_fp8_fp8 v[176:179], a[54:55], v[142:143], v[176:179]// 00000000B18C: D3F300B0 0EC31D36
	v_mfma_f32_16x16x32_fp8_fp8 v[180:183], a[52:53], v[160:161], v[180:183]// 00000000B194: D3F300B4 0ED34134
	v_mfma_f32_16x16x32_fp8_fp8 v[180:183], a[54:55], v[162:163], v[180:183]// 00000000B19C: D3F300B4 0ED34536
	v_mfma_f32_16x16x32_fp8_fp8 v[184:187], a[56:57], v[140:141], v[184:187]// 00000000B1A4: D3F300B8 0EE31938
	buffer_load_dwordx4 a[136:139], v48, s[12:15], 0 offen     // 00000000B1AC: E05C1000 80838830
	v_mfma_f32_16x16x32_fp8_fp8 v[184:187], a[58:59], v[142:143], v[184:187]// 00000000B1B4: D3F300B8 0EE31D3A
	v_mfma_f32_16x16x32_fp8_fp8 v[188:191], a[56:57], v[160:161], v[188:191]// 00000000B1BC: D3F300BC 0EF34138
	v_mfma_f32_16x16x32_fp8_fp8 v[188:191], a[58:59], v[162:163], v[188:191]// 00000000B1C4: D3F300BC 0EF3453A
	v_mfma_f32_16x16x32_fp8_fp8 v[192:195], a[60:61], v[140:141], v[192:195]// 00000000B1CC: D3F300C0 0F03193C
	buffer_load_dwordx4 a[140:143], v49, s[12:15], 0 offen     // 00000000B1D4: E05C1000 80838C31
	s_add_u32 s12, s78, s12                                    // 00000000B1DC: 800C0C4E
	s_addc_u32 s13, 0, s13                                     // 00000000B1E0: 820D0D80
	v_mfma_f32_16x16x32_fp8_fp8 v[192:195], a[62:63], v[142:143], v[192:195]// 00000000B1E4: D3F300C0 0F031D3E
	v_mfma_f32_16x16x32_fp8_fp8 v[196:199], a[60:61], v[160:161], v[196:199]// 00000000B1EC: D3F300C4 0F13413C
	v_mfma_f32_16x16x32_fp8_fp8 v[196:199], a[62:63], v[162:163], v[196:199]// 00000000B1F4: D3F300C4 0F13453E
	s_waitcnt vmcnt(32)                                        // 00000000B1FC: BF8C8F70
	v_mfma_f32_16x16x32_fp8_fp8 v[168:171], a[64:65], v[144:145], v[168:171]// 00000000B200: D3F300A8 0EA32140
	buffer_load_dwordx4 a[144:147], v46, s[12:15], 0 offen     // 00000000B208: E05C1000 8083902E
	v_mfma_f32_16x16x32_fp8_fp8 v[168:171], a[66:67], v[146:147], v[168:171]// 00000000B210: D3F300A8 0EA32542
	v_mfma_f32_16x16x32_fp8_fp8 v[172:175], a[64:65], v[164:165], v[172:175]// 00000000B218: D3F300AC 0EB34940
	buffer_load_dword v13, v5, s[16:19], 0 offen               // 00000000B220: E0501000 80040D05
	v_mfma_f32_16x16x32_fp8_fp8 v[172:175], a[66:67], v[166:167], v[172:175]// 00000000B228: D3F300AC 0EB34D42
	v_mfma_f32_16x16x32_fp8_fp8 v[176:179], a[68:69], v[144:145], v[176:179]// 00000000B230: D3F300B0 0EC32144
	buffer_load_dwordx4 a[148:151], v47, s[12:15], 0 offen     // 00000000B238: E05C1000 8083942F
	v_mfma_f32_16x16x32_fp8_fp8 v[176:179], a[70:71], v[146:147], v[176:179]// 00000000B240: D3F300B0 0EC32546
	v_mfma_f32_16x16x32_fp8_fp8 v[180:183], a[68:69], v[164:165], v[180:183]// 00000000B248: D3F300B4 0ED34944
	v_mfma_f32_16x16x32_fp8_fp8 v[180:183], a[70:71], v[166:167], v[180:183]// 00000000B250: D3F300B4 0ED34D46
	v_mfma_f32_16x16x32_fp8_fp8 v[184:187], a[72:73], v[144:145], v[184:187]// 00000000B258: D3F300B8 0EE32148
	buffer_load_dwordx4 a[152:155], v48, s[12:15], 0 offen     // 00000000B260: E05C1000 80839830
	v_mfma_f32_16x16x32_fp8_fp8 v[184:187], a[74:75], v[146:147], v[184:187]// 00000000B268: D3F300B8 0EE3254A
	v_mfma_f32_16x16x32_fp8_fp8 v[188:191], a[72:73], v[164:165], v[188:191]// 00000000B270: D3F300BC 0EF34948
	v_mfma_f32_16x16x32_fp8_fp8 v[188:191], a[74:75], v[166:167], v[188:191]// 00000000B278: D3F300BC 0EF34D4A
	v_mfma_f32_16x16x32_fp8_fp8 v[192:195], a[76:77], v[144:145], v[192:195]// 00000000B280: D3F300C0 0F03214C
	buffer_load_dwordx4 a[156:159], v49, s[12:15], 0 offen     // 00000000B288: E05C1000 80839C31
	v_mfma_f32_16x16x32_fp8_fp8 v[192:195], a[78:79], v[146:147], v[192:195]// 00000000B290: D3F300C0 0F03254E
	v_mfma_f32_16x16x32_fp8_fp8 v[196:199], a[76:77], v[164:165], v[196:199]// 00000000B298: D3F300C4 0F13494C
	v_mfma_f32_16x16x32_fp8_fp8 v[196:199], a[78:79], v[166:167], v[196:199]// 00000000B2A0: D3F300C4 0F134D4E
	s_add_u32 s60, 0x200, s80                                  // 00000000B2A8: 803C50FF 00000200
	s_cmp_lt_u32 s60, s81                                      // 00000000B2B0: BF0A513C
	s_cselect_b32 s56, s56, 0                                  // 00000000B2B4: 85388038
	s_cselect_b32 s78, s78, 0                                  // 00000000B2B8: 854E804E
	s_cselect_b32 s79, s79, 0                                  // 00000000B2BC: 854F804F
	s_add_u32 s12, s56, s12                                    // 00000000B2C0: 800C0C38
	s_addc_u32 s13, 0, s13                                     // 00000000B2C4: 820D0D80
	s_add_u32 s16, s79, s16                                    // 00000000B2C8: 8010104F
	s_addc_u32 s17, 0, s17                                     // 00000000B2CC: 82111180
	v_mov_b32_e32 v42, v24                                     // 00000000B2D0: 7E540318
	v_mov_b32_e32 v44, v20                                     // 00000000B2D4: 7E580314
	v_mov_b32_e32 v43, v42                                     // 00000000B2D8: 7E56032A
	v_mov_b32_e32 v45, v44                                     // 00000000B2DC: 7E5A032C
	v_pk_mul_f32 v[168:169], v[42:43], v[168:169]              // 00000000B2E0: D3B140A8 1803512A
	v_pk_mul_f32 v[170:171], v[42:43], v[170:171]              // 00000000B2E8: D3B140AA 1803552A
	v_mul_f32_dpp v168, v12, v168 row_newbcast:0 row_mask:0xf bank_mask:0xf// 00000000B2F0: 0B5150FA FF01500C
	v_mul_f32_dpp v169, v12, v169 row_newbcast:1 row_mask:0xf bank_mask:0xf// 00000000B2F8: 0B5352FA FF01510C
	v_mul_f32_dpp v170, v12, v170 row_newbcast:2 row_mask:0xf bank_mask:0xf// 00000000B300: 0B5554FA FF01520C
	v_mul_f32_dpp v171, v12, v171 row_newbcast:3 row_mask:0xf bank_mask:0xf// 00000000B308: 0B5756FA FF01530C
	v_pk_mul_f32 v[168:169], v[44:45], v[168:169]              // 00000000B310: D3B140A8 1803512C
	v_pk_mul_f32 v[170:171], v[44:45], v[170:171]              // 00000000B318: D3B140AA 1803552C
	v_pk_mul_f32 v[176:177], v[42:43], v[176:177]              // 00000000B320: D3B140B0 1803612A
	v_pk_mul_f32 v[178:179], v[42:43], v[178:179]              // 00000000B328: D3B140B2 1803652A
	v_mul_f32_dpp v176, v12, v176 row_newbcast:4 row_mask:0xf bank_mask:0xf// 00000000B330: 0B6160FA FF01540C
	v_mul_f32_dpp v177, v12, v177 row_newbcast:5 row_mask:0xf bank_mask:0xf// 00000000B338: 0B6362FA FF01550C
	v_mul_f32_dpp v178, v12, v178 row_newbcast:6 row_mask:0xf bank_mask:0xf// 00000000B340: 0B6564FA FF01560C
	v_mul_f32_dpp v179, v12, v179 row_newbcast:7 row_mask:0xf bank_mask:0xf// 00000000B348: 0B6766FA FF01570C
	v_pk_mul_f32 v[176:177], v[44:45], v[176:177]              // 00000000B350: D3B140B0 1803612C
	v_pk_mul_f32 v[178:179], v[44:45], v[178:179]              // 00000000B358: D3B140B2 1803652C
	v_pk_mul_f32 v[184:185], v[42:43], v[184:185]              // 00000000B360: D3B140B8 1803712A
	v_pk_mul_f32 v[186:187], v[42:43], v[186:187]              // 00000000B368: D3B140BA 1803752A
	v_mul_f32_dpp v184, v12, v184 row_newbcast:8 row_mask:0xf bank_mask:0xf// 00000000B370: 0B7170FA FF01580C
	v_mul_f32_dpp v185, v12, v185 row_newbcast:9 row_mask:0xf bank_mask:0xf// 00000000B378: 0B7372FA FF01590C
	v_mul_f32_dpp v186, v12, v186 row_newbcast:10 row_mask:0xf bank_mask:0xf// 00000000B380: 0B7574FA FF015A0C
	v_mul_f32_dpp v187, v12, v187 row_newbcast:11 row_mask:0xf bank_mask:0xf// 00000000B388: 0B7776FA FF015B0C
	v_pk_mul_f32 v[184:185], v[44:45], v[184:185]              // 00000000B390: D3B140B8 1803712C
	v_pk_mul_f32 v[186:187], v[44:45], v[186:187]              // 00000000B398: D3B140BA 1803752C
	v_pk_mul_f32 v[192:193], v[42:43], v[192:193]              // 00000000B3A0: D3B140C0 1803812A
	v_pk_mul_f32 v[194:195], v[42:43], v[194:195]              // 00000000B3A8: D3B140C2 1803852A
	v_mul_f32_dpp v192, v12, v192 row_newbcast:12 row_mask:0xf bank_mask:0xf// 00000000B3B0: 0B8180FA FF015C0C
	v_mul_f32_dpp v193, v12, v193 row_newbcast:13 row_mask:0xf bank_mask:0xf// 00000000B3B8: 0B8382FA FF015D0C
	v_mul_f32_dpp v194, v12, v194 row_newbcast:14 row_mask:0xf bank_mask:0xf// 00000000B3C0: 0B8584FA FF015E0C
	v_mul_f32_dpp v195, v12, v195 row_newbcast:15 row_mask:0xf bank_mask:0xf// 00000000B3C8: 0B8786FA FF015F0C
	v_pk_mul_f32 v[192:193], v[44:45], v[192:193]              // 00000000B3D0: D3B140C0 1803812C
	v_pk_mul_f32 v[194:195], v[44:45], v[194:195]              // 00000000B3D8: D3B140C2 1803852C
	v_mov_b32_e32 v42, v25                                     // 00000000B3E0: 7E540319
	v_mov_b32_e32 v44, v21                                     // 00000000B3E4: 7E580315
	v_mov_b32_e32 v43, v42                                     // 00000000B3E8: 7E56032A
	v_mov_b32_e32 v45, v44                                     // 00000000B3EC: 7E5A032C
	v_pk_mul_f32 v[172:173], v[42:43], v[172:173]              // 00000000B3F0: D3B140AC 1803592A
	v_pk_mul_f32 v[174:175], v[42:43], v[174:175]              // 00000000B3F8: D3B140AE 18035D2A
	v_mul_f32_dpp v172, v12, v172 row_newbcast:0 row_mask:0xf bank_mask:0xf// 00000000B400: 0B5958FA FF01500C
	v_mul_f32_dpp v173, v12, v173 row_newbcast:1 row_mask:0xf bank_mask:0xf// 00000000B408: 0B5B5AFA FF01510C
	v_mul_f32_dpp v174, v12, v174 row_newbcast:2 row_mask:0xf bank_mask:0xf// 00000000B410: 0B5D5CFA FF01520C
	v_mul_f32_dpp v175, v12, v175 row_newbcast:3 row_mask:0xf bank_mask:0xf// 00000000B418: 0B5F5EFA FF01530C
	v_pk_mul_f32 v[172:173], v[44:45], v[172:173]              // 00000000B420: D3B140AC 1803592C
	v_pk_mul_f32 v[174:175], v[44:45], v[174:175]              // 00000000B428: D3B140AE 18035D2C
	v_pk_mul_f32 v[180:181], v[42:43], v[180:181]              // 00000000B430: D3B140B4 1803692A
	v_pk_mul_f32 v[182:183], v[42:43], v[182:183]              // 00000000B438: D3B140B6 18036D2A
	v_mul_f32_dpp v180, v12, v180 row_newbcast:4 row_mask:0xf bank_mask:0xf// 00000000B440: 0B6968FA FF01540C
	v_mul_f32_dpp v181, v12, v181 row_newbcast:5 row_mask:0xf bank_mask:0xf// 00000000B448: 0B6B6AFA FF01550C
	v_mul_f32_dpp v182, v12, v182 row_newbcast:6 row_mask:0xf bank_mask:0xf// 00000000B450: 0B6D6CFA FF01560C
	v_mul_f32_dpp v183, v12, v183 row_newbcast:7 row_mask:0xf bank_mask:0xf// 00000000B458: 0B6F6EFA FF01570C
	v_pk_mul_f32 v[180:181], v[44:45], v[180:181]              // 00000000B460: D3B140B4 1803692C
	v_pk_mul_f32 v[182:183], v[44:45], v[182:183]              // 00000000B468: D3B140B6 18036D2C
	v_pk_mul_f32 v[188:189], v[42:43], v[188:189]              // 00000000B470: D3B140BC 1803792A
	v_pk_mul_f32 v[190:191], v[42:43], v[190:191]              // 00000000B478: D3B140BE 18037D2A
	v_mul_f32_dpp v188, v12, v188 row_newbcast:8 row_mask:0xf bank_mask:0xf// 00000000B480: 0B7978FA FF01580C
	v_mul_f32_dpp v189, v12, v189 row_newbcast:9 row_mask:0xf bank_mask:0xf// 00000000B488: 0B7B7AFA FF01590C
	v_mul_f32_dpp v190, v12, v190 row_newbcast:10 row_mask:0xf bank_mask:0xf// 00000000B490: 0B7D7CFA FF015A0C
	v_mul_f32_dpp v191, v12, v191 row_newbcast:11 row_mask:0xf bank_mask:0xf// 00000000B498: 0B7F7EFA FF015B0C
	v_pk_mul_f32 v[188:189], v[44:45], v[188:189]              // 00000000B4A0: D3B140BC 1803792C
	v_pk_mul_f32 v[190:191], v[44:45], v[190:191]              // 00000000B4A8: D3B140BE 18037D2C
	v_pk_mul_f32 v[196:197], v[42:43], v[196:197]              // 00000000B4B0: D3B140C4 1803892A
	v_pk_mul_f32 v[198:199], v[42:43], v[198:199]              // 00000000B4B8: D3B140C6 18038D2A
	v_mul_f32_dpp v196, v12, v196 row_newbcast:12 row_mask:0xf bank_mask:0xf// 00000000B4C0: 0B8988FA FF015C0C
	v_mul_f32_dpp v197, v12, v197 row_newbcast:13 row_mask:0xf bank_mask:0xf// 00000000B4C8: 0B8B8AFA FF015D0C
	v_mul_f32_dpp v198, v12, v198 row_newbcast:14 row_mask:0xf bank_mask:0xf// 00000000B4D0: 0B8D8CFA FF015E0C
	v_mul_f32_dpp v199, v12, v199 row_newbcast:15 row_mask:0xf bank_mask:0xf// 00000000B4D8: 0B8F8EFA FF015F0C
	v_pk_mul_f32 v[196:197], v[44:45], v[196:197]              // 00000000B4E0: D3B140C4 1803892C
	v_pk_mul_f32 v[198:199], v[44:45], v[198:199]              // 00000000B4E8: D3B140C6 18038D2C
	v_cmp_u_f32_e64 s[48:49], v168, v168                       // 00000000B4F0: D0480030 000351A8
	v_add3_u32 v50, v168, v53, 1                               // 00000000B4F8: D1FF0032 02066BA8
	v_cndmask_b32_e64 v42, v50, v52, s[48:49]                  // 00000000B500: D100002A 00C26932
	v_cmp_u_f32_e64 s[48:49], v169, v169                       // 00000000B508: D0480030 000353A9
	v_add3_u32 v50, v169, v53, 1                               // 00000000B510: D1FF0032 02066BA9
	v_cndmask_b32_e64 v43, v50, v52, s[48:49]                  // 00000000B518: D100002B 00C26932
	v_perm_b32 v168, v43, v42, s52                             // 00000000B520: D1ED00A8 00D2552B
	v_cmp_u_f32_e64 s[48:49], v170, v170                       // 00000000B528: D0480030 000355AA
	v_add3_u32 v50, v170, v53, 1                               // 00000000B530: D1FF0032 02066BAA
	v_cndmask_b32_e64 v42, v50, v52, s[48:49]                  // 00000000B538: D100002A 00C26932
	v_cmp_u_f32_e64 s[48:49], v171, v171                       // 00000000B540: D0480030 000357AB
	v_add3_u32 v50, v171, v53, 1                               // 00000000B548: D1FF0032 02066BAB
	v_cndmask_b32_e64 v43, v50, v52, s[48:49]                  // 00000000B550: D100002B 00C26932
	v_perm_b32 v169, v43, v42, s52                             // 00000000B558: D1ED00A9 00D2552B
	v_cmp_u_f32_e64 s[48:49], v172, v172                       // 00000000B560: D0480030 000359AC
	v_add3_u32 v50, v172, v53, 1                               // 00000000B568: D1FF0032 02066BAC
	v_cndmask_b32_e64 v42, v50, v52, s[48:49]                  // 00000000B570: D100002A 00C26932
	v_cmp_u_f32_e64 s[48:49], v173, v173                       // 00000000B578: D0480030 00035BAD
	v_add3_u32 v50, v173, v53, 1                               // 00000000B580: D1FF0032 02066BAD
	v_cndmask_b32_e64 v43, v50, v52, s[48:49]                  // 00000000B588: D100002B 00C26932
	v_perm_b32 v170, v43, v42, s52                             // 00000000B590: D1ED00AA 00D2552B
	v_cmp_u_f32_e64 s[48:49], v174, v174                       // 00000000B598: D0480030 00035DAE
	v_add3_u32 v50, v174, v53, 1                               // 00000000B5A0: D1FF0032 02066BAE
	v_cndmask_b32_e64 v42, v50, v52, s[48:49]                  // 00000000B5A8: D100002A 00C26932
	v_cmp_u_f32_e64 s[48:49], v175, v175                       // 00000000B5B0: D0480030 00035FAF
	v_add3_u32 v50, v175, v53, 1                               // 00000000B5B8: D1FF0032 02066BAF
	v_cndmask_b32_e64 v43, v50, v52, s[48:49]                  // 00000000B5C0: D100002B 00C26932
	v_perm_b32 v171, v43, v42, s52                             // 00000000B5C8: D1ED00AB 00D2552B
	v_cmp_u_f32_e64 s[48:49], v176, v176                       // 00000000B5D0: D0480030 000361B0
	v_add3_u32 v50, v176, v53, 1                               // 00000000B5D8: D1FF0032 02066BB0
	v_cndmask_b32_e64 v42, v50, v52, s[48:49]                  // 00000000B5E0: D100002A 00C26932
	v_cmp_u_f32_e64 s[48:49], v177, v177                       // 00000000B5E8: D0480030 000363B1
	v_add3_u32 v50, v177, v53, 1                               // 00000000B5F0: D1FF0032 02066BB1
	v_cndmask_b32_e64 v43, v50, v52, s[48:49]                  // 00000000B5F8: D100002B 00C26932
	v_perm_b32 v172, v43, v42, s52                             // 00000000B600: D1ED00AC 00D2552B
	v_cmp_u_f32_e64 s[48:49], v178, v178                       // 00000000B608: D0480030 000365B2
	v_add3_u32 v50, v178, v53, 1                               // 00000000B610: D1FF0032 02066BB2
	v_cndmask_b32_e64 v42, v50, v52, s[48:49]                  // 00000000B618: D100002A 00C26932
	v_cmp_u_f32_e64 s[48:49], v179, v179                       // 00000000B620: D0480030 000367B3
	v_add3_u32 v50, v179, v53, 1                               // 00000000B628: D1FF0032 02066BB3
	v_cndmask_b32_e64 v43, v50, v52, s[48:49]                  // 00000000B630: D100002B 00C26932
	v_perm_b32 v173, v43, v42, s52                             // 00000000B638: D1ED00AD 00D2552B
	v_cmp_u_f32_e64 s[48:49], v180, v180                       // 00000000B640: D0480030 000369B4
	v_add3_u32 v50, v180, v53, 1                               // 00000000B648: D1FF0032 02066BB4
	v_cndmask_b32_e64 v42, v50, v52, s[48:49]                  // 00000000B650: D100002A 00C26932
	v_cmp_u_f32_e64 s[48:49], v181, v181                       // 00000000B658: D0480030 00036BB5
	v_add3_u32 v50, v181, v53, 1                               // 00000000B660: D1FF0032 02066BB5
	v_cndmask_b32_e64 v43, v50, v52, s[48:49]                  // 00000000B668: D100002B 00C26932
	v_perm_b32 v174, v43, v42, s52                             // 00000000B670: D1ED00AE 00D2552B
	v_cmp_u_f32_e64 s[48:49], v182, v182                       // 00000000B678: D0480030 00036DB6
	v_add3_u32 v50, v182, v53, 1                               // 00000000B680: D1FF0032 02066BB6
	v_cndmask_b32_e64 v42, v50, v52, s[48:49]                  // 00000000B688: D100002A 00C26932
	v_cmp_u_f32_e64 s[48:49], v183, v183                       // 00000000B690: D0480030 00036FB7
	v_add3_u32 v50, v183, v53, 1                               // 00000000B698: D1FF0032 02066BB7
	v_cndmask_b32_e64 v43, v50, v52, s[48:49]                  // 00000000B6A0: D100002B 00C26932
	v_perm_b32 v175, v43, v42, s52                             // 00000000B6A8: D1ED00AF 00D2552B
	v_cmp_u_f32_e64 s[48:49], v184, v184                       // 00000000B6B0: D0480030 000371B8
	v_add3_u32 v50, v184, v53, 1                               // 00000000B6B8: D1FF0032 02066BB8
	v_cndmask_b32_e64 v42, v50, v52, s[48:49]                  // 00000000B6C0: D100002A 00C26932
	v_cmp_u_f32_e64 s[48:49], v185, v185                       // 00000000B6C8: D0480030 000373B9
	v_add3_u32 v50, v185, v53, 1                               // 00000000B6D0: D1FF0032 02066BB9
	v_cndmask_b32_e64 v43, v50, v52, s[48:49]                  // 00000000B6D8: D100002B 00C26932
	v_perm_b32 v176, v43, v42, s52                             // 00000000B6E0: D1ED00B0 00D2552B
	v_cmp_u_f32_e64 s[48:49], v186, v186                       // 00000000B6E8: D0480030 000375BA
	v_add3_u32 v50, v186, v53, 1                               // 00000000B6F0: D1FF0032 02066BBA
	v_cndmask_b32_e64 v42, v50, v52, s[48:49]                  // 00000000B6F8: D100002A 00C26932
	v_cmp_u_f32_e64 s[48:49], v187, v187                       // 00000000B700: D0480030 000377BB
	v_add3_u32 v50, v187, v53, 1                               // 00000000B708: D1FF0032 02066BBB
	v_cndmask_b32_e64 v43, v50, v52, s[48:49]                  // 00000000B710: D100002B 00C26932
	v_perm_b32 v177, v43, v42, s52                             // 00000000B718: D1ED00B1 00D2552B
	v_cmp_u_f32_e64 s[48:49], v188, v188                       // 00000000B720: D0480030 000379BC
	v_add3_u32 v50, v188, v53, 1                               // 00000000B728: D1FF0032 02066BBC
	v_cndmask_b32_e64 v42, v50, v52, s[48:49]                  // 00000000B730: D100002A 00C26932
	v_cmp_u_f32_e64 s[48:49], v189, v189                       // 00000000B738: D0480030 00037BBD
	v_add3_u32 v50, v189, v53, 1                               // 00000000B740: D1FF0032 02066BBD
	v_cndmask_b32_e64 v43, v50, v52, s[48:49]                  // 00000000B748: D100002B 00C26932
	v_perm_b32 v178, v43, v42, s52                             // 00000000B750: D1ED00B2 00D2552B
	v_cmp_u_f32_e64 s[48:49], v190, v190                       // 00000000B758: D0480030 00037DBE
	v_add3_u32 v50, v190, v53, 1                               // 00000000B760: D1FF0032 02066BBE
	v_cndmask_b32_e64 v42, v50, v52, s[48:49]                  // 00000000B768: D100002A 00C26932
	v_cmp_u_f32_e64 s[48:49], v191, v191                       // 00000000B770: D0480030 00037FBF
	v_add3_u32 v50, v191, v53, 1                               // 00000000B778: D1FF0032 02066BBF
	v_cndmask_b32_e64 v43, v50, v52, s[48:49]                  // 00000000B780: D100002B 00C26932
	v_perm_b32 v179, v43, v42, s52                             // 00000000B788: D1ED00B3 00D2552B
	v_cmp_u_f32_e64 s[48:49], v192, v192                       // 00000000B790: D0480030 000381C0
	v_add3_u32 v50, v192, v53, 1                               // 00000000B798: D1FF0032 02066BC0
	v_cndmask_b32_e64 v42, v50, v52, s[48:49]                  // 00000000B7A0: D100002A 00C26932
	v_cmp_u_f32_e64 s[48:49], v193, v193                       // 00000000B7A8: D0480030 000383C1
	v_add3_u32 v50, v193, v53, 1                               // 00000000B7B0: D1FF0032 02066BC1
	v_cndmask_b32_e64 v43, v50, v52, s[48:49]                  // 00000000B7B8: D100002B 00C26932
	v_perm_b32 v180, v43, v42, s52                             // 00000000B7C0: D1ED00B4 00D2552B
	v_cmp_u_f32_e64 s[48:49], v194, v194                       // 00000000B7C8: D0480030 000385C2
	v_add3_u32 v50, v194, v53, 1                               // 00000000B7D0: D1FF0032 02066BC2
	v_cndmask_b32_e64 v42, v50, v52, s[48:49]                  // 00000000B7D8: D100002A 00C26932
	v_cmp_u_f32_e64 s[48:49], v195, v195                       // 00000000B7E0: D0480030 000387C3
	v_add3_u32 v50, v195, v53, 1                               // 00000000B7E8: D1FF0032 02066BC3
	v_cndmask_b32_e64 v43, v50, v52, s[48:49]                  // 00000000B7F0: D100002B 00C26932
	v_perm_b32 v181, v43, v42, s52                             // 00000000B7F8: D1ED00B5 00D2552B
	v_cmp_u_f32_e64 s[48:49], v196, v196                       // 00000000B800: D0480030 000389C4
	v_add3_u32 v50, v196, v53, 1                               // 00000000B808: D1FF0032 02066BC4
	v_cndmask_b32_e64 v42, v50, v52, s[48:49]                  // 00000000B810: D100002A 00C26932
	v_cmp_u_f32_e64 s[48:49], v197, v197                       // 00000000B818: D0480030 00038BC5
	v_add3_u32 v50, v197, v53, 1                               // 00000000B820: D1FF0032 02066BC5
	v_cndmask_b32_e64 v43, v50, v52, s[48:49]                  // 00000000B828: D100002B 00C26932
	v_perm_b32 v182, v43, v42, s52                             // 00000000B830: D1ED00B6 00D2552B
	v_cmp_u_f32_e64 s[48:49], v198, v198                       // 00000000B838: D0480030 00038DC6
	v_add3_u32 v50, v198, v53, 1                               // 00000000B840: D1FF0032 02066BC6
	v_cndmask_b32_e64 v42, v50, v52, s[48:49]                  // 00000000B848: D100002A 00C26932
	v_cmp_u_f32_e64 s[48:49], v199, v199                       // 00000000B850: D0480030 00038FC7
	v_add3_u32 v50, v199, v53, 1                               // 00000000B858: D1FF0032 02066BC7
	v_cndmask_b32_e64 v43, v50, v52, s[48:49]                  // 00000000B860: D100002B 00C26932
	v_perm_b32 v183, v43, v42, s52                             // 00000000B868: D1ED00B7 00D2552B
	ds_write_b64 v3, v[168:169] offset:2048                    // 00000000B870: D89A0800 0000A803
	ds_write_b64 v3, v[170:171] offset:10752                   // 00000000B878: D89A2A00 0000AA03
	ds_write_b64 v3, v[172:173] offset:4224                    // 00000000B880: D89A1080 0000AC03
	ds_write_b64 v3, v[174:175] offset:12928                   // 00000000B888: D89A3280 0000AE03
	ds_write_b64 v3, v[176:177] offset:6400                    // 00000000B890: D89A1900 0000B003
	ds_write_b64 v3, v[178:179] offset:15104                   // 00000000B898: D89A3B00 0000B203
	ds_write_b64 v3, v[180:181] offset:8576                    // 00000000B8A0: D89A2180 0000B403
	ds_write_b64 v3, v[182:183] offset:17280                   // 00000000B8A8: D89A4380 0000B603
	s_waitcnt lgkmcnt(0)                                       // 00000000B8B0: BF8CC07F
	s_barrier                                                  // 00000000B8B4: BF8A0000
	ds_read_b32 v64, v4 offset:2048                            // 00000000B8B8: D86C0800 40000004
	ds_read_b32 v65, v4 offset:6400                            // 00000000B8C0: D86C1900 41000004
	ds_read_b32 v66, v4 offset:2080                            // 00000000B8C8: D86C0820 42000004
	ds_read_b32 v67, v4 offset:6432                            // 00000000B8D0: D86C1920 43000004
	ds_read_b32 v68, v4 offset:2112                            // 00000000B8D8: D86C0840 44000004
	ds_read_b32 v69, v4 offset:6464                            // 00000000B8E0: D86C1940 45000004
	ds_read_b32 v70, v4 offset:2144                            // 00000000B8E8: D86C0860 46000004
	ds_read_b32 v71, v4 offset:6496                            // 00000000B8F0: D86C1960 47000004
	ds_read_b32 v72, v4 offset:10752                           // 00000000B8F8: D86C2A00 48000004
	ds_read_b32 v73, v4 offset:15104                           // 00000000B900: D86C3B00 49000004
	ds_read_b32 v74, v4 offset:10784                           // 00000000B908: D86C2A20 4A000004
	ds_read_b32 v75, v4 offset:15136                           // 00000000B910: D86C3B20 4B000004
	ds_read_b32 v76, v4 offset:10816                           // 00000000B918: D86C2A40 4C000004
	ds_read_b32 v77, v4 offset:15168                           // 00000000B920: D86C3B40 4D000004
	ds_read_b32 v78, v4 offset:10848                           // 00000000B928: D86C2A60 4E000004
	ds_read_b32 v79, v4 offset:15200                           // 00000000B930: D86C3B60 4F000004
	s_waitcnt lgkmcnt(0)                                       // 00000000B938: BF8CC07F
	s_mov_b64 exec, s[20:21]                                   // 00000000B93C: BEFE0114
	global_atomic_pk_add_bf16 v80, v64, s[8:9]                 // 00000000B940: DD488000 00084050
	s_mov_b64 exec, s[36:37]                                   // 00000000B948: BEFE0124
	s_mov_b64 exec, s[20:21]                                   // 00000000B94C: BEFE0114
	global_atomic_pk_add_bf16 v80, v65, s[8:9] offset:256      // 00000000B950: DD488100 00084150
	s_mov_b64 exec, s[36:37]                                   // 00000000B958: BEFE0124
	s_mov_b64 exec, s[22:23]                                   // 00000000B95C: BEFE0116
	global_atomic_pk_add_bf16 v82, v66, s[8:9]                 // 00000000B960: DD488000 00084252
	s_mov_b64 exec, s[36:37]                                   // 00000000B968: BEFE0124
	s_mov_b64 exec, s[22:23]                                   // 00000000B96C: BEFE0116
	global_atomic_pk_add_bf16 v82, v67, s[8:9] offset:256      // 00000000B970: DD488100 00084352
	s_mov_b64 exec, s[36:37]                                   // 00000000B978: BEFE0124
	s_mov_b64 exec, s[24:25]                                   // 00000000B97C: BEFE0118
	global_atomic_pk_add_bf16 v84, v68, s[8:9]                 // 00000000B980: DD488000 00084454
	s_mov_b64 exec, s[36:37]                                   // 00000000B988: BEFE0124
	s_mov_b64 exec, s[24:25]                                   // 00000000B98C: BEFE0118
	global_atomic_pk_add_bf16 v84, v69, s[8:9] offset:256      // 00000000B990: DD488100 00084554
	s_mov_b64 exec, s[36:37]                                   // 00000000B998: BEFE0124
	s_mov_b64 exec, s[26:27]                                   // 00000000B99C: BEFE011A
	global_atomic_pk_add_bf16 v86, v70, s[8:9]                 // 00000000B9A0: DD488000 00084656
	s_mov_b64 exec, s[36:37]                                   // 00000000B9A8: BEFE0124
	s_mov_b64 exec, s[26:27]                                   // 00000000B9AC: BEFE011A
	global_atomic_pk_add_bf16 v86, v71, s[8:9] offset:256      // 00000000B9B0: DD488100 00084756
	s_mov_b64 exec, s[36:37]                                   // 00000000B9B8: BEFE0124
	s_mov_b64 exec, s[28:29]                                   // 00000000B9BC: BEFE011C
	global_atomic_pk_add_bf16 v88, v72, s[8:9]                 // 00000000B9C0: DD488000 00084858
	s_mov_b64 exec, s[36:37]                                   // 00000000B9C8: BEFE0124
	s_mov_b64 exec, s[28:29]                                   // 00000000B9CC: BEFE011C
	global_atomic_pk_add_bf16 v88, v73, s[8:9] offset:256      // 00000000B9D0: DD488100 00084958
	s_mov_b64 exec, s[36:37]                                   // 00000000B9D8: BEFE0124
	s_mov_b64 exec, s[30:31]                                   // 00000000B9DC: BEFE011E
	global_atomic_pk_add_bf16 v90, v74, s[8:9]                 // 00000000B9E0: DD488000 00084A5A
	s_mov_b64 exec, s[36:37]                                   // 00000000B9E8: BEFE0124
	s_mov_b64 exec, s[30:31]                                   // 00000000B9EC: BEFE011E
	global_atomic_pk_add_bf16 v90, v75, s[8:9] offset:256      // 00000000B9F0: DD488100 00084B5A
	s_mov_b64 exec, s[36:37]                                   // 00000000B9F8: BEFE0124
	s_mov_b64 exec, s[32:33]                                   // 00000000B9FC: BEFE0120
	global_atomic_pk_add_bf16 v92, v76, s[8:9]                 // 00000000BA00: DD488000 00084C5C
	s_mov_b64 exec, s[36:37]                                   // 00000000BA08: BEFE0124
	s_mov_b64 exec, s[32:33]                                   // 00000000BA0C: BEFE0120
	global_atomic_pk_add_bf16 v92, v77, s[8:9] offset:256      // 00000000BA10: DD488100 00084D5C
	s_mov_b64 exec, s[36:37]                                   // 00000000BA18: BEFE0124
	s_mov_b64 exec, s[34:35]                                   // 00000000BA1C: BEFE0122
	global_atomic_pk_add_bf16 v94, v78, s[8:9]                 // 00000000BA20: DD488000 00084E5E
	s_mov_b64 exec, s[36:37]                                   // 00000000BA28: BEFE0124
	s_mov_b64 exec, s[34:35]                                   // 00000000BA2C: BEFE0122
	global_atomic_pk_add_bf16 v94, v79, s[8:9] offset:256      // 00000000BA30: DD488100 00084F5E
	s_mov_b64 exec, s[36:37]                                   // 00000000BA38: BEFE0124
	s_add_u32 s8, s59, s8                                      // 00000000BA3C: 8008083B
	s_addc_u32 s9, 0, s9                                       // 00000000BA40: 82090980
	s_addk_i32 s80, 0x100                                      // 00000000BA44: B7500100
	s_cmp_lt_i32 s80, s81                                      // 00000000BA48: BF045150
	s_cbranch_scc0 label_152F                                  // 00000000BA4C: BF84F15B
	s_waitcnt vmcnt(33)                                        // 00000000BA50: BF8C8F71
	s_barrier                                                  // 00000000BA54: BF8A0000
	v_mfma_f32_16x16x32_fp8_fp8 v[200:203], a[80:81], v[128:129], 0// 00000000BA58: D3F300C8 0A030150
	buffer_load_dwordx4 a[0:3], v46, s[12:15], 0 offen         // 00000000BA60: E05C1000 8083002E
	v_mfma_f32_16x16x32_fp8_fp8 v[200:203], a[82:83], v[130:131], v[200:203]// 00000000BA68: D3F300C8 0F230552
	v_mfma_f32_16x16x32_fp8_fp8 v[204:207], a[80:81], v[148:149], 0// 00000000BA70: D3F300CC 0A032950
	v_mfma_f32_16x16x32_fp8_fp8 v[204:207], a[82:83], v[150:151], v[204:207]// 00000000BA78: D3F300CC 0F332D52
	v_mfma_f32_16x16x32_fp8_fp8 v[208:211], a[84:85], v[128:129], 0// 00000000BA80: D3F300D0 0A030154
	buffer_load_dwordx4 a[4:7], v47, s[12:15], 0 offen         // 00000000BA88: E05C1000 8083042F
	v_mfma_f32_16x16x32_fp8_fp8 v[208:211], a[86:87], v[130:131], v[208:211]// 00000000BA90: D3F300D0 0F430556
	v_mfma_f32_16x16x32_fp8_fp8 v[212:215], a[84:85], v[148:149], 0// 00000000BA98: D3F300D4 0A032954
	v_mfma_f32_16x16x32_fp8_fp8 v[212:215], a[86:87], v[150:151], v[212:215]// 00000000BAA0: D3F300D4 0F532D56
	v_mfma_f32_16x16x32_fp8_fp8 v[216:219], a[88:89], v[128:129], 0// 00000000BAA8: D3F300D8 0A030158
	buffer_load_dwordx4 a[8:11], v48, s[12:15], 0 offen        // 00000000BAB0: E05C1000 80830830
	v_mfma_f32_16x16x32_fp8_fp8 v[216:219], a[90:91], v[130:131], v[216:219]// 00000000BAB8: D3F300D8 0F63055A
	v_mfma_f32_16x16x32_fp8_fp8 v[220:223], a[88:89], v[148:149], 0// 00000000BAC0: D3F300DC 0A032958
	v_mfma_f32_16x16x32_fp8_fp8 v[220:223], a[90:91], v[150:151], v[220:223]// 00000000BAC8: D3F300DC 0F732D5A
	v_mfma_f32_16x16x32_fp8_fp8 v[224:227], a[92:93], v[128:129], 0// 00000000BAD0: D3F300E0 0A03015C
	buffer_load_dwordx4 a[12:15], v49, s[12:15], 0 offen       // 00000000BAD8: E05C1000 80830C31
	s_add_u32 s12, s78, s12                                    // 00000000BAE0: 800C0C4E
	s_addc_u32 s13, 0, s13                                     // 00000000BAE4: 820D0D80
	v_mfma_f32_16x16x32_fp8_fp8 v[224:227], a[94:95], v[130:131], v[224:227]// 00000000BAE8: D3F300E0 0F83055E
	v_mfma_f32_16x16x32_fp8_fp8 v[228:231], a[92:93], v[148:149], 0// 00000000BAF0: D3F300E4 0A03295C
	v_mfma_f32_16x16x32_fp8_fp8 v[228:231], a[94:95], v[150:151], v[228:231]// 00000000BAF8: D3F300E4 0F932D5E
	s_waitcnt vmcnt(33)                                        // 00000000BB00: BF8C8F71
	v_mfma_f32_16x16x32_fp8_fp8 v[200:203], a[96:97], v[132:133], v[200:203]// 00000000BB04: D3F300C8 0F230960
	buffer_load_dwordx4 a[16:19], v46, s[12:15], 0 offen       // 00000000BB0C: E05C1000 8083102E
	v_mfma_f32_16x16x32_fp8_fp8 v[200:203], a[98:99], v[134:135], v[200:203]// 00000000BB14: D3F300C8 0F230D62
	v_mfma_f32_16x16x32_fp8_fp8 v[204:207], a[96:97], v[152:153], v[204:207]// 00000000BB1C: D3F300CC 0F333160
	v_mfma_f32_16x16x32_fp8_fp8 v[204:207], a[98:99], v[154:155], v[204:207]// 00000000BB24: D3F300CC 0F333562
	v_mfma_f32_16x16x32_fp8_fp8 v[208:211], a[100:101], v[132:133], v[208:211]// 00000000BB2C: D3F300D0 0F430964
	buffer_load_dwordx4 a[20:23], v47, s[12:15], 0 offen       // 00000000BB34: E05C1000 8083142F
	v_mfma_f32_16x16x32_fp8_fp8 v[208:211], a[102:103], v[134:135], v[208:211]// 00000000BB3C: D3F300D0 0F430D66
	v_mfma_f32_16x16x32_fp8_fp8 v[212:215], a[100:101], v[152:153], v[212:215]// 00000000BB44: D3F300D4 0F533164
	v_mfma_f32_16x16x32_fp8_fp8 v[212:215], a[102:103], v[154:155], v[212:215]// 00000000BB4C: D3F300D4 0F533566
	v_mfma_f32_16x16x32_fp8_fp8 v[216:219], a[104:105], v[132:133], v[216:219]// 00000000BB54: D3F300D8 0F630968
	buffer_load_dwordx4 a[24:27], v48, s[12:15], 0 offen       // 00000000BB5C: E05C1000 80831830
	v_mfma_f32_16x16x32_fp8_fp8 v[216:219], a[106:107], v[134:135], v[216:219]// 00000000BB64: D3F300D8 0F630D6A
	v_mfma_f32_16x16x32_fp8_fp8 v[220:223], a[104:105], v[152:153], v[220:223]// 00000000BB6C: D3F300DC 0F733168
	v_mfma_f32_16x16x32_fp8_fp8 v[220:223], a[106:107], v[154:155], v[220:223]// 00000000BB74: D3F300DC 0F73356A
	v_mfma_f32_16x16x32_fp8_fp8 v[224:227], a[108:109], v[132:133], v[224:227]// 00000000BB7C: D3F300E0 0F83096C
	buffer_load_dwordx4 a[28:31], v49, s[12:15], 0 offen       // 00000000BB84: E05C1000 80831C31
	s_add_u32 s12, s78, s12                                    // 00000000BB8C: 800C0C4E
	s_addc_u32 s13, 0, s13                                     // 00000000BB90: 820D0D80
	v_mfma_f32_16x16x32_fp8_fp8 v[224:227], a[110:111], v[134:135], v[224:227]// 00000000BB94: D3F300E0 0F830D6E
	v_mfma_f32_16x16x32_fp8_fp8 v[228:231], a[108:109], v[152:153], v[228:231]// 00000000BB9C: D3F300E4 0F93316C
	v_mfma_f32_16x16x32_fp8_fp8 v[228:231], a[110:111], v[154:155], v[228:231]// 00000000BBA4: D3F300E4 0F93356E
	s_waitcnt vmcnt(33)                                        // 00000000BBAC: BF8C8F71
	v_mfma_f32_16x16x32_fp8_fp8 v[200:203], a[112:113], v[136:137], v[200:203]// 00000000BBB0: D3F300C8 0F231170
	buffer_load_dwordx4 a[32:35], v46, s[12:15], 0 offen       // 00000000BBB8: E05C1000 8083202E
	v_mfma_f32_16x16x32_fp8_fp8 v[200:203], a[114:115], v[138:139], v[200:203]// 00000000BBC0: D3F300C8 0F231572
	v_mfma_f32_16x16x32_fp8_fp8 v[204:207], a[112:113], v[156:157], v[204:207]// 00000000BBC8: D3F300CC 0F333970
	v_mfma_f32_16x16x32_fp8_fp8 v[204:207], a[114:115], v[158:159], v[204:207]// 00000000BBD0: D3F300CC 0F333D72
	v_mfma_f32_16x16x32_fp8_fp8 v[208:211], a[116:117], v[136:137], v[208:211]// 00000000BBD8: D3F300D0 0F431174
	buffer_load_dwordx4 a[36:39], v47, s[12:15], 0 offen       // 00000000BBE0: E05C1000 8083242F
	v_mfma_f32_16x16x32_fp8_fp8 v[208:211], a[118:119], v[138:139], v[208:211]// 00000000BBE8: D3F300D0 0F431576
	v_mfma_f32_16x16x32_fp8_fp8 v[212:215], a[116:117], v[156:157], v[212:215]// 00000000BBF0: D3F300D4 0F533974
	v_mfma_f32_16x16x32_fp8_fp8 v[212:215], a[118:119], v[158:159], v[212:215]// 00000000BBF8: D3F300D4 0F533D76
	v_mfma_f32_16x16x32_fp8_fp8 v[216:219], a[120:121], v[136:137], v[216:219]// 00000000BC00: D3F300D8 0F631178
	buffer_load_dwordx4 a[40:43], v48, s[12:15], 0 offen       // 00000000BC08: E05C1000 80832830
	v_mfma_f32_16x16x32_fp8_fp8 v[216:219], a[122:123], v[138:139], v[216:219]// 00000000BC10: D3F300D8 0F63157A
	v_mfma_f32_16x16x32_fp8_fp8 v[220:223], a[120:121], v[156:157], v[220:223]// 00000000BC18: D3F300DC 0F733978
	v_mfma_f32_16x16x32_fp8_fp8 v[220:223], a[122:123], v[158:159], v[220:223]// 00000000BC20: D3F300DC 0F733D7A
	v_mfma_f32_16x16x32_fp8_fp8 v[224:227], a[124:125], v[136:137], v[224:227]// 00000000BC28: D3F300E0 0F83117C
	buffer_load_dwordx4 a[44:47], v49, s[12:15], 0 offen       // 00000000BC30: E05C1000 80832C31
	s_add_u32 s12, s78, s12                                    // 00000000BC38: 800C0C4E
	s_addc_u32 s13, 0, s13                                     // 00000000BC3C: 820D0D80
	v_mfma_f32_16x16x32_fp8_fp8 v[224:227], a[126:127], v[138:139], v[224:227]// 00000000BC40: D3F300E0 0F83157E
	v_mfma_f32_16x16x32_fp8_fp8 v[228:231], a[124:125], v[156:157], v[228:231]// 00000000BC48: D3F300E4 0F93397C
	v_mfma_f32_16x16x32_fp8_fp8 v[228:231], a[126:127], v[158:159], v[228:231]// 00000000BC50: D3F300E4 0F933D7E
	s_waitcnt vmcnt(33)                                        // 00000000BC58: BF8C8F71
	v_mfma_f32_16x16x32_fp8_fp8 v[200:203], a[128:129], v[140:141], v[200:203]// 00000000BC5C: D3F300C8 0F231980
	buffer_load_dwordx4 a[48:51], v46, s[12:15], 0 offen       // 00000000BC64: E05C1000 8083302E
	v_mfma_f32_16x16x32_fp8_fp8 v[200:203], a[130:131], v[142:143], v[200:203]// 00000000BC6C: D3F300C8 0F231D82
	v_mfma_f32_16x16x32_fp8_fp8 v[204:207], a[128:129], v[160:161], v[204:207]// 00000000BC74: D3F300CC 0F334180
	v_mfma_f32_16x16x32_fp8_fp8 v[204:207], a[130:131], v[162:163], v[204:207]// 00000000BC7C: D3F300CC 0F334582
	v_mfma_f32_16x16x32_fp8_fp8 v[208:211], a[132:133], v[140:141], v[208:211]// 00000000BC84: D3F300D0 0F431984
	buffer_load_dwordx4 a[52:55], v47, s[12:15], 0 offen       // 00000000BC8C: E05C1000 8083342F
	v_mfma_f32_16x16x32_fp8_fp8 v[208:211], a[134:135], v[142:143], v[208:211]// 00000000BC94: D3F300D0 0F431D86
	v_mfma_f32_16x16x32_fp8_fp8 v[212:215], a[132:133], v[160:161], v[212:215]// 00000000BC9C: D3F300D4 0F534184
	v_mfma_f32_16x16x32_fp8_fp8 v[212:215], a[134:135], v[162:163], v[212:215]// 00000000BCA4: D3F300D4 0F534586
	v_mfma_f32_16x16x32_fp8_fp8 v[216:219], a[136:137], v[140:141], v[216:219]// 00000000BCAC: D3F300D8 0F631988
	buffer_load_dwordx4 a[56:59], v48, s[12:15], 0 offen       // 00000000BCB4: E05C1000 80833830
	v_mfma_f32_16x16x32_fp8_fp8 v[216:219], a[138:139], v[142:143], v[216:219]// 00000000BCBC: D3F300D8 0F631D8A
	v_mfma_f32_16x16x32_fp8_fp8 v[220:223], a[136:137], v[160:161], v[220:223]// 00000000BCC4: D3F300DC 0F734188
	v_mfma_f32_16x16x32_fp8_fp8 v[220:223], a[138:139], v[162:163], v[220:223]// 00000000BCCC: D3F300DC 0F73458A
	v_mfma_f32_16x16x32_fp8_fp8 v[224:227], a[140:141], v[140:141], v[224:227]// 00000000BCD4: D3F300E0 0F83198C
	buffer_load_dwordx4 a[60:63], v49, s[12:15], 0 offen       // 00000000BCDC: E05C1000 80833C31
	s_add_u32 s12, s78, s12                                    // 00000000BCE4: 800C0C4E
	s_addc_u32 s13, 0, s13                                     // 00000000BCE8: 820D0D80
	v_mfma_f32_16x16x32_fp8_fp8 v[224:227], a[142:143], v[142:143], v[224:227]// 00000000BCEC: D3F300E0 0F831D8E
	v_mfma_f32_16x16x32_fp8_fp8 v[228:231], a[140:141], v[160:161], v[228:231]// 00000000BCF4: D3F300E4 0F93418C
	v_mfma_f32_16x16x32_fp8_fp8 v[228:231], a[142:143], v[162:163], v[228:231]// 00000000BCFC: D3F300E4 0F93458E
	s_waitcnt vmcnt(32)                                        // 00000000BD04: BF8C8F70
	v_mfma_f32_16x16x32_fp8_fp8 v[200:203], a[144:145], v[144:145], v[200:203]// 00000000BD08: D3F300C8 0F232190
	buffer_load_dwordx4 a[64:67], v46, s[12:15], 0 offen       // 00000000BD10: E05C1000 8083402E
	v_mfma_f32_16x16x32_fp8_fp8 v[200:203], a[146:147], v[146:147], v[200:203]// 00000000BD18: D3F300C8 0F232592
	v_mfma_f32_16x16x32_fp8_fp8 v[204:207], a[144:145], v[164:165], v[204:207]// 00000000BD20: D3F300CC 0F334990
	buffer_load_dword v12, v5, s[16:19], 0 offen               // 00000000BD28: E0501000 80040C05
	v_mfma_f32_16x16x32_fp8_fp8 v[204:207], a[146:147], v[166:167], v[204:207]// 00000000BD30: D3F300CC 0F334D92
	v_mfma_f32_16x16x32_fp8_fp8 v[208:211], a[148:149], v[144:145], v[208:211]// 00000000BD38: D3F300D0 0F432194
	buffer_load_dwordx4 a[68:71], v47, s[12:15], 0 offen       // 00000000BD40: E05C1000 8083442F
	v_mfma_f32_16x16x32_fp8_fp8 v[208:211], a[150:151], v[146:147], v[208:211]// 00000000BD48: D3F300D0 0F432596
	v_mfma_f32_16x16x32_fp8_fp8 v[212:215], a[148:149], v[164:165], v[212:215]// 00000000BD50: D3F300D4 0F534994
	v_mfma_f32_16x16x32_fp8_fp8 v[212:215], a[150:151], v[166:167], v[212:215]// 00000000BD58: D3F300D4 0F534D96
	v_mfma_f32_16x16x32_fp8_fp8 v[216:219], a[152:153], v[144:145], v[216:219]// 00000000BD60: D3F300D8 0F632198
	buffer_load_dwordx4 a[72:75], v48, s[12:15], 0 offen       // 00000000BD68: E05C1000 80834830
	v_mfma_f32_16x16x32_fp8_fp8 v[216:219], a[154:155], v[146:147], v[216:219]// 00000000BD70: D3F300D8 0F63259A
	v_mfma_f32_16x16x32_fp8_fp8 v[220:223], a[152:153], v[164:165], v[220:223]// 00000000BD78: D3F300DC 0F734998
	v_mfma_f32_16x16x32_fp8_fp8 v[220:223], a[154:155], v[166:167], v[220:223]// 00000000BD80: D3F300DC 0F734D9A
	v_mfma_f32_16x16x32_fp8_fp8 v[224:227], a[156:157], v[144:145], v[224:227]// 00000000BD88: D3F300E0 0F83219C
	buffer_load_dwordx4 a[76:79], v49, s[12:15], 0 offen       // 00000000BD90: E05C1000 80834C31
	v_mfma_f32_16x16x32_fp8_fp8 v[224:227], a[158:159], v[146:147], v[224:227]// 00000000BD98: D3F300E0 0F83259E
	v_mfma_f32_16x16x32_fp8_fp8 v[228:231], a[156:157], v[164:165], v[228:231]// 00000000BDA0: D3F300E4 0F93499C
	v_mfma_f32_16x16x32_fp8_fp8 v[228:231], a[158:159], v[166:167], v[228:231]// 00000000BDA8: D3F300E4 0F934D9E
	s_add_u32 s60, 0x200, s80                                  // 00000000BDB0: 803C50FF 00000200
	s_cmp_lt_u32 s60, s81                                      // 00000000BDB8: BF0A513C
	s_cselect_b32 s56, s56, 0                                  // 00000000BDBC: 85388038
	s_cselect_b32 s78, s78, 0                                  // 00000000BDC0: 854E804E
	s_cselect_b32 s79, s79, 0                                  // 00000000BDC4: 854F804F
	s_add_u32 s12, s56, s12                                    // 00000000BDC8: 800C0C38
	s_addc_u32 s13, 0, s13                                     // 00000000BDCC: 820D0D80
	s_add_u32 s16, s79, s16                                    // 00000000BDD0: 8010104F
	s_addc_u32 s17, 0, s17                                     // 00000000BDD4: 82111180
	v_mov_b32_e32 v42, v24                                     // 00000000BDD8: 7E540318
	v_mov_b32_e32 v44, v20                                     // 00000000BDDC: 7E580314
	v_mov_b32_e32 v43, v42                                     // 00000000BDE0: 7E56032A
	v_mov_b32_e32 v45, v44                                     // 00000000BDE4: 7E5A032C
	v_pk_mul_f32 v[200:201], v[42:43], v[200:201]              // 00000000BDE8: D3B140C8 1803912A
	v_pk_mul_f32 v[202:203], v[42:43], v[202:203]              // 00000000BDF0: D3B140CA 1803952A
	v_mul_f32_dpp v200, v13, v200 row_newbcast:0 row_mask:0xf bank_mask:0xf// 00000000BDF8: 0B9190FA FF01500D
	v_mul_f32_dpp v201, v13, v201 row_newbcast:1 row_mask:0xf bank_mask:0xf// 00000000BE00: 0B9392FA FF01510D
	v_mul_f32_dpp v202, v13, v202 row_newbcast:2 row_mask:0xf bank_mask:0xf// 00000000BE08: 0B9594FA FF01520D
	v_mul_f32_dpp v203, v13, v203 row_newbcast:3 row_mask:0xf bank_mask:0xf// 00000000BE10: 0B9796FA FF01530D
	v_pk_mul_f32 v[200:201], v[44:45], v[200:201]              // 00000000BE18: D3B140C8 1803912C
	v_pk_mul_f32 v[202:203], v[44:45], v[202:203]              // 00000000BE20: D3B140CA 1803952C
	v_pk_mul_f32 v[208:209], v[42:43], v[208:209]              // 00000000BE28: D3B140D0 1803A12A
	v_pk_mul_f32 v[210:211], v[42:43], v[210:211]              // 00000000BE30: D3B140D2 1803A52A
	v_mul_f32_dpp v208, v13, v208 row_newbcast:4 row_mask:0xf bank_mask:0xf// 00000000BE38: 0BA1A0FA FF01540D
	v_mul_f32_dpp v209, v13, v209 row_newbcast:5 row_mask:0xf bank_mask:0xf// 00000000BE40: 0BA3A2FA FF01550D
	v_mul_f32_dpp v210, v13, v210 row_newbcast:6 row_mask:0xf bank_mask:0xf// 00000000BE48: 0BA5A4FA FF01560D
	v_mul_f32_dpp v211, v13, v211 row_newbcast:7 row_mask:0xf bank_mask:0xf// 00000000BE50: 0BA7A6FA FF01570D
	v_pk_mul_f32 v[208:209], v[44:45], v[208:209]              // 00000000BE58: D3B140D0 1803A12C
	v_pk_mul_f32 v[210:211], v[44:45], v[210:211]              // 00000000BE60: D3B140D2 1803A52C
	v_pk_mul_f32 v[216:217], v[42:43], v[216:217]              // 00000000BE68: D3B140D8 1803B12A
	v_pk_mul_f32 v[218:219], v[42:43], v[218:219]              // 00000000BE70: D3B140DA 1803B52A
	v_mul_f32_dpp v216, v13, v216 row_newbcast:8 row_mask:0xf bank_mask:0xf// 00000000BE78: 0BB1B0FA FF01580D
	v_mul_f32_dpp v217, v13, v217 row_newbcast:9 row_mask:0xf bank_mask:0xf// 00000000BE80: 0BB3B2FA FF01590D
	v_mul_f32_dpp v218, v13, v218 row_newbcast:10 row_mask:0xf bank_mask:0xf// 00000000BE88: 0BB5B4FA FF015A0D
	v_mul_f32_dpp v219, v13, v219 row_newbcast:11 row_mask:0xf bank_mask:0xf// 00000000BE90: 0BB7B6FA FF015B0D
	v_pk_mul_f32 v[216:217], v[44:45], v[216:217]              // 00000000BE98: D3B140D8 1803B12C
	v_pk_mul_f32 v[218:219], v[44:45], v[218:219]              // 00000000BEA0: D3B140DA 1803B52C
	v_pk_mul_f32 v[224:225], v[42:43], v[224:225]              // 00000000BEA8: D3B140E0 1803C12A
	v_pk_mul_f32 v[226:227], v[42:43], v[226:227]              // 00000000BEB0: D3B140E2 1803C52A
	v_mul_f32_dpp v224, v13, v224 row_newbcast:12 row_mask:0xf bank_mask:0xf// 00000000BEB8: 0BC1C0FA FF015C0D
	v_mul_f32_dpp v225, v13, v225 row_newbcast:13 row_mask:0xf bank_mask:0xf// 00000000BEC0: 0BC3C2FA FF015D0D
	v_mul_f32_dpp v226, v13, v226 row_newbcast:14 row_mask:0xf bank_mask:0xf// 00000000BEC8: 0BC5C4FA FF015E0D
	v_mul_f32_dpp v227, v13, v227 row_newbcast:15 row_mask:0xf bank_mask:0xf// 00000000BED0: 0BC7C6FA FF015F0D
	v_pk_mul_f32 v[224:225], v[44:45], v[224:225]              // 00000000BED8: D3B140E0 1803C12C
	v_pk_mul_f32 v[226:227], v[44:45], v[226:227]              // 00000000BEE0: D3B140E2 1803C52C
	v_mov_b32_e32 v42, v25                                     // 00000000BEE8: 7E540319
	v_mov_b32_e32 v44, v21                                     // 00000000BEEC: 7E580315
	v_mov_b32_e32 v43, v42                                     // 00000000BEF0: 7E56032A
	v_mov_b32_e32 v45, v44                                     // 00000000BEF4: 7E5A032C
	v_pk_mul_f32 v[204:205], v[42:43], v[204:205]              // 00000000BEF8: D3B140CC 1803992A
	v_pk_mul_f32 v[206:207], v[42:43], v[206:207]              // 00000000BF00: D3B140CE 18039D2A
	v_mul_f32_dpp v204, v13, v204 row_newbcast:0 row_mask:0xf bank_mask:0xf// 00000000BF08: 0B9998FA FF01500D
	v_mul_f32_dpp v205, v13, v205 row_newbcast:1 row_mask:0xf bank_mask:0xf// 00000000BF10: 0B9B9AFA FF01510D
	v_mul_f32_dpp v206, v13, v206 row_newbcast:2 row_mask:0xf bank_mask:0xf// 00000000BF18: 0B9D9CFA FF01520D
	v_mul_f32_dpp v207, v13, v207 row_newbcast:3 row_mask:0xf bank_mask:0xf// 00000000BF20: 0B9F9EFA FF01530D
	v_pk_mul_f32 v[204:205], v[44:45], v[204:205]              // 00000000BF28: D3B140CC 1803992C
	v_pk_mul_f32 v[206:207], v[44:45], v[206:207]              // 00000000BF30: D3B140CE 18039D2C
	v_pk_mul_f32 v[212:213], v[42:43], v[212:213]              // 00000000BF38: D3B140D4 1803A92A
	v_pk_mul_f32 v[214:215], v[42:43], v[214:215]              // 00000000BF40: D3B140D6 1803AD2A
	v_mul_f32_dpp v212, v13, v212 row_newbcast:4 row_mask:0xf bank_mask:0xf// 00000000BF48: 0BA9A8FA FF01540D
	v_mul_f32_dpp v213, v13, v213 row_newbcast:5 row_mask:0xf bank_mask:0xf// 00000000BF50: 0BABAAFA FF01550D
	v_mul_f32_dpp v214, v13, v214 row_newbcast:6 row_mask:0xf bank_mask:0xf// 00000000BF58: 0BADACFA FF01560D
	v_mul_f32_dpp v215, v13, v215 row_newbcast:7 row_mask:0xf bank_mask:0xf// 00000000BF60: 0BAFAEFA FF01570D
	v_pk_mul_f32 v[212:213], v[44:45], v[212:213]              // 00000000BF68: D3B140D4 1803A92C
	v_pk_mul_f32 v[214:215], v[44:45], v[214:215]              // 00000000BF70: D3B140D6 1803AD2C
	v_pk_mul_f32 v[220:221], v[42:43], v[220:221]              // 00000000BF78: D3B140DC 1803B92A
	v_pk_mul_f32 v[222:223], v[42:43], v[222:223]              // 00000000BF80: D3B140DE 1803BD2A
	v_mul_f32_dpp v220, v13, v220 row_newbcast:8 row_mask:0xf bank_mask:0xf// 00000000BF88: 0BB9B8FA FF01580D
	v_mul_f32_dpp v221, v13, v221 row_newbcast:9 row_mask:0xf bank_mask:0xf// 00000000BF90: 0BBBBAFA FF01590D
	v_mul_f32_dpp v222, v13, v222 row_newbcast:10 row_mask:0xf bank_mask:0xf// 00000000BF98: 0BBDBCFA FF015A0D
	v_mul_f32_dpp v223, v13, v223 row_newbcast:11 row_mask:0xf bank_mask:0xf// 00000000BFA0: 0BBFBEFA FF015B0D
	v_pk_mul_f32 v[220:221], v[44:45], v[220:221]              // 00000000BFA8: D3B140DC 1803B92C
	v_pk_mul_f32 v[222:223], v[44:45], v[222:223]              // 00000000BFB0: D3B140DE 1803BD2C
	v_pk_mul_f32 v[228:229], v[42:43], v[228:229]              // 00000000BFB8: D3B140E4 1803C92A
	v_pk_mul_f32 v[230:231], v[42:43], v[230:231]              // 00000000BFC0: D3B140E6 1803CD2A
	v_mul_f32_dpp v228, v13, v228 row_newbcast:12 row_mask:0xf bank_mask:0xf// 00000000BFC8: 0BC9C8FA FF015C0D
	v_mul_f32_dpp v229, v13, v229 row_newbcast:13 row_mask:0xf bank_mask:0xf// 00000000BFD0: 0BCBCAFA FF015D0D
	v_mul_f32_dpp v230, v13, v230 row_newbcast:14 row_mask:0xf bank_mask:0xf// 00000000BFD8: 0BCDCCFA FF015E0D
	v_mul_f32_dpp v231, v13, v231 row_newbcast:15 row_mask:0xf bank_mask:0xf// 00000000BFE0: 0BCFCEFA FF015F0D
	v_pk_mul_f32 v[228:229], v[44:45], v[228:229]              // 00000000BFE8: D3B140E4 1803C92C
	v_pk_mul_f32 v[230:231], v[44:45], v[230:231]              // 00000000BFF0: D3B140E6 1803CD2C
	v_cmp_u_f32_e64 s[48:49], v200, v200                       // 00000000BFF8: D0480030 000391C8
	v_add3_u32 v50, v200, v53, 1                               // 00000000C000: D1FF0032 02066BC8
	v_cndmask_b32_e64 v42, v50, v52, s[48:49]                  // 00000000C008: D100002A 00C26932
	v_cmp_u_f32_e64 s[48:49], v201, v201                       // 00000000C010: D0480030 000393C9
	v_add3_u32 v50, v201, v53, 1                               // 00000000C018: D1FF0032 02066BC9
	v_cndmask_b32_e64 v43, v50, v52, s[48:49]                  // 00000000C020: D100002B 00C26932
	v_perm_b32 v200, v43, v42, s52                             // 00000000C028: D1ED00C8 00D2552B
	v_cmp_u_f32_e64 s[48:49], v202, v202                       // 00000000C030: D0480030 000395CA
	v_add3_u32 v50, v202, v53, 1                               // 00000000C038: D1FF0032 02066BCA
	v_cndmask_b32_e64 v42, v50, v52, s[48:49]                  // 00000000C040: D100002A 00C26932
	v_cmp_u_f32_e64 s[48:49], v203, v203                       // 00000000C048: D0480030 000397CB
	v_add3_u32 v50, v203, v53, 1                               // 00000000C050: D1FF0032 02066BCB
	v_cndmask_b32_e64 v43, v50, v52, s[48:49]                  // 00000000C058: D100002B 00C26932
	v_perm_b32 v201, v43, v42, s52                             // 00000000C060: D1ED00C9 00D2552B
	v_cmp_u_f32_e64 s[48:49], v204, v204                       // 00000000C068: D0480030 000399CC
	v_add3_u32 v50, v204, v53, 1                               // 00000000C070: D1FF0032 02066BCC
	v_cndmask_b32_e64 v42, v50, v52, s[48:49]                  // 00000000C078: D100002A 00C26932
	v_cmp_u_f32_e64 s[48:49], v205, v205                       // 00000000C080: D0480030 00039BCD
	v_add3_u32 v50, v205, v53, 1                               // 00000000C088: D1FF0032 02066BCD
	v_cndmask_b32_e64 v43, v50, v52, s[48:49]                  // 00000000C090: D100002B 00C26932
	v_perm_b32 v202, v43, v42, s52                             // 00000000C098: D1ED00CA 00D2552B
	v_cmp_u_f32_e64 s[48:49], v206, v206                       // 00000000C0A0: D0480030 00039DCE
	v_add3_u32 v50, v206, v53, 1                               // 00000000C0A8: D1FF0032 02066BCE
	v_cndmask_b32_e64 v42, v50, v52, s[48:49]                  // 00000000C0B0: D100002A 00C26932
	v_cmp_u_f32_e64 s[48:49], v207, v207                       // 00000000C0B8: D0480030 00039FCF
	v_add3_u32 v50, v207, v53, 1                               // 00000000C0C0: D1FF0032 02066BCF
	v_cndmask_b32_e64 v43, v50, v52, s[48:49]                  // 00000000C0C8: D100002B 00C26932
	v_perm_b32 v203, v43, v42, s52                             // 00000000C0D0: D1ED00CB 00D2552B
	v_cmp_u_f32_e64 s[48:49], v208, v208                       // 00000000C0D8: D0480030 0003A1D0
	v_add3_u32 v50, v208, v53, 1                               // 00000000C0E0: D1FF0032 02066BD0
	v_cndmask_b32_e64 v42, v50, v52, s[48:49]                  // 00000000C0E8: D100002A 00C26932
	v_cmp_u_f32_e64 s[48:49], v209, v209                       // 00000000C0F0: D0480030 0003A3D1
	v_add3_u32 v50, v209, v53, 1                               // 00000000C0F8: D1FF0032 02066BD1
	v_cndmask_b32_e64 v43, v50, v52, s[48:49]                  // 00000000C100: D100002B 00C26932
	v_perm_b32 v204, v43, v42, s52                             // 00000000C108: D1ED00CC 00D2552B
	v_cmp_u_f32_e64 s[48:49], v210, v210                       // 00000000C110: D0480030 0003A5D2
	v_add3_u32 v50, v210, v53, 1                               // 00000000C118: D1FF0032 02066BD2
	v_cndmask_b32_e64 v42, v50, v52, s[48:49]                  // 00000000C120: D100002A 00C26932
	v_cmp_u_f32_e64 s[48:49], v211, v211                       // 00000000C128: D0480030 0003A7D3
	v_add3_u32 v50, v211, v53, 1                               // 00000000C130: D1FF0032 02066BD3
	v_cndmask_b32_e64 v43, v50, v52, s[48:49]                  // 00000000C138: D100002B 00C26932
	v_perm_b32 v205, v43, v42, s52                             // 00000000C140: D1ED00CD 00D2552B
	v_cmp_u_f32_e64 s[48:49], v212, v212                       // 00000000C148: D0480030 0003A9D4
	v_add3_u32 v50, v212, v53, 1                               // 00000000C150: D1FF0032 02066BD4
	v_cndmask_b32_e64 v42, v50, v52, s[48:49]                  // 00000000C158: D100002A 00C26932
	v_cmp_u_f32_e64 s[48:49], v213, v213                       // 00000000C160: D0480030 0003ABD5
	v_add3_u32 v50, v213, v53, 1                               // 00000000C168: D1FF0032 02066BD5
	v_cndmask_b32_e64 v43, v50, v52, s[48:49]                  // 00000000C170: D100002B 00C26932
	v_perm_b32 v206, v43, v42, s52                             // 00000000C178: D1ED00CE 00D2552B
	v_cmp_u_f32_e64 s[48:49], v214, v214                       // 00000000C180: D0480030 0003ADD6
	v_add3_u32 v50, v214, v53, 1                               // 00000000C188: D1FF0032 02066BD6
	v_cndmask_b32_e64 v42, v50, v52, s[48:49]                  // 00000000C190: D100002A 00C26932
	v_cmp_u_f32_e64 s[48:49], v215, v215                       // 00000000C198: D0480030 0003AFD7
	v_add3_u32 v50, v215, v53, 1                               // 00000000C1A0: D1FF0032 02066BD7
	v_cndmask_b32_e64 v43, v50, v52, s[48:49]                  // 00000000C1A8: D100002B 00C26932
	v_perm_b32 v207, v43, v42, s52                             // 00000000C1B0: D1ED00CF 00D2552B
	v_cmp_u_f32_e64 s[48:49], v216, v216                       // 00000000C1B8: D0480030 0003B1D8
	v_add3_u32 v50, v216, v53, 1                               // 00000000C1C0: D1FF0032 02066BD8
	v_cndmask_b32_e64 v42, v50, v52, s[48:49]                  // 00000000C1C8: D100002A 00C26932
	v_cmp_u_f32_e64 s[48:49], v217, v217                       // 00000000C1D0: D0480030 0003B3D9
	v_add3_u32 v50, v217, v53, 1                               // 00000000C1D8: D1FF0032 02066BD9
	v_cndmask_b32_e64 v43, v50, v52, s[48:49]                  // 00000000C1E0: D100002B 00C26932
	v_perm_b32 v208, v43, v42, s52                             // 00000000C1E8: D1ED00D0 00D2552B
	v_cmp_u_f32_e64 s[48:49], v218, v218                       // 00000000C1F0: D0480030 0003B5DA
	v_add3_u32 v50, v218, v53, 1                               // 00000000C1F8: D1FF0032 02066BDA
	v_cndmask_b32_e64 v42, v50, v52, s[48:49]                  // 00000000C200: D100002A 00C26932
	v_cmp_u_f32_e64 s[48:49], v219, v219                       // 00000000C208: D0480030 0003B7DB
	v_add3_u32 v50, v219, v53, 1                               // 00000000C210: D1FF0032 02066BDB
	v_cndmask_b32_e64 v43, v50, v52, s[48:49]                  // 00000000C218: D100002B 00C26932
	v_perm_b32 v209, v43, v42, s52                             // 00000000C220: D1ED00D1 00D2552B
	v_cmp_u_f32_e64 s[48:49], v220, v220                       // 00000000C228: D0480030 0003B9DC
	v_add3_u32 v50, v220, v53, 1                               // 00000000C230: D1FF0032 02066BDC
	v_cndmask_b32_e64 v42, v50, v52, s[48:49]                  // 00000000C238: D100002A 00C26932
	v_cmp_u_f32_e64 s[48:49], v221, v221                       // 00000000C240: D0480030 0003BBDD
	v_add3_u32 v50, v221, v53, 1                               // 00000000C248: D1FF0032 02066BDD
	v_cndmask_b32_e64 v43, v50, v52, s[48:49]                  // 00000000C250: D100002B 00C26932
	v_perm_b32 v210, v43, v42, s52                             // 00000000C258: D1ED00D2 00D2552B
	v_cmp_u_f32_e64 s[48:49], v222, v222                       // 00000000C260: D0480030 0003BDDE
	v_add3_u32 v50, v222, v53, 1                               // 00000000C268: D1FF0032 02066BDE
	v_cndmask_b32_e64 v42, v50, v52, s[48:49]                  // 00000000C270: D100002A 00C26932
	v_cmp_u_f32_e64 s[48:49], v223, v223                       // 00000000C278: D0480030 0003BFDF
	v_add3_u32 v50, v223, v53, 1                               // 00000000C280: D1FF0032 02066BDF
	v_cndmask_b32_e64 v43, v50, v52, s[48:49]                  // 00000000C288: D100002B 00C26932
	v_perm_b32 v211, v43, v42, s52                             // 00000000C290: D1ED00D3 00D2552B
	v_cmp_u_f32_e64 s[48:49], v224, v224                       // 00000000C298: D0480030 0003C1E0
	v_add3_u32 v50, v224, v53, 1                               // 00000000C2A0: D1FF0032 02066BE0
	v_cndmask_b32_e64 v42, v50, v52, s[48:49]                  // 00000000C2A8: D100002A 00C26932
	v_cmp_u_f32_e64 s[48:49], v225, v225                       // 00000000C2B0: D0480030 0003C3E1
	v_add3_u32 v50, v225, v53, 1                               // 00000000C2B8: D1FF0032 02066BE1
	v_cndmask_b32_e64 v43, v50, v52, s[48:49]                  // 00000000C2C0: D100002B 00C26932
	v_perm_b32 v212, v43, v42, s52                             // 00000000C2C8: D1ED00D4 00D2552B
	v_cmp_u_f32_e64 s[48:49], v226, v226                       // 00000000C2D0: D0480030 0003C5E2
	v_add3_u32 v50, v226, v53, 1                               // 00000000C2D8: D1FF0032 02066BE2
	v_cndmask_b32_e64 v42, v50, v52, s[48:49]                  // 00000000C2E0: D100002A 00C26932
	v_cmp_u_f32_e64 s[48:49], v227, v227                       // 00000000C2E8: D0480030 0003C7E3
	v_add3_u32 v50, v227, v53, 1                               // 00000000C2F0: D1FF0032 02066BE3
	v_cndmask_b32_e64 v43, v50, v52, s[48:49]                  // 00000000C2F8: D100002B 00C26932
	v_perm_b32 v213, v43, v42, s52                             // 00000000C300: D1ED00D5 00D2552B
	v_cmp_u_f32_e64 s[48:49], v228, v228                       // 00000000C308: D0480030 0003C9E4
	v_add3_u32 v50, v228, v53, 1                               // 00000000C310: D1FF0032 02066BE4
	v_cndmask_b32_e64 v42, v50, v52, s[48:49]                  // 00000000C318: D100002A 00C26932
	v_cmp_u_f32_e64 s[48:49], v229, v229                       // 00000000C320: D0480030 0003CBE5
	v_add3_u32 v50, v229, v53, 1                               // 00000000C328: D1FF0032 02066BE5
	v_cndmask_b32_e64 v43, v50, v52, s[48:49]                  // 00000000C330: D100002B 00C26932
	v_perm_b32 v214, v43, v42, s52                             // 00000000C338: D1ED00D6 00D2552B
	v_cmp_u_f32_e64 s[48:49], v230, v230                       // 00000000C340: D0480030 0003CDE6
	v_add3_u32 v50, v230, v53, 1                               // 00000000C348: D1FF0032 02066BE6
	v_cndmask_b32_e64 v42, v50, v52, s[48:49]                  // 00000000C350: D100002A 00C26932
	v_cmp_u_f32_e64 s[48:49], v231, v231                       // 00000000C358: D0480030 0003CFE7
	v_add3_u32 v50, v231, v53, 1                               // 00000000C360: D1FF0032 02066BE7
	v_cndmask_b32_e64 v43, v50, v52, s[48:49]                  // 00000000C368: D100002B 00C26932
	v_perm_b32 v215, v43, v42, s52                             // 00000000C370: D1ED00D7 00D2552B
	ds_write_b64 v3, v[200:201] offset:2048                    // 00000000C378: D89A0800 0000C803
	ds_write_b64 v3, v[202:203] offset:10752                   // 00000000C380: D89A2A00 0000CA03
	ds_write_b64 v3, v[204:205] offset:4224                    // 00000000C388: D89A1080 0000CC03
	ds_write_b64 v3, v[206:207] offset:12928                   // 00000000C390: D89A3280 0000CE03
	ds_write_b64 v3, v[208:209] offset:6400                    // 00000000C398: D89A1900 0000D003
	ds_write_b64 v3, v[210:211] offset:15104                   // 00000000C3A0: D89A3B00 0000D203
	ds_write_b64 v3, v[212:213] offset:8576                    // 00000000C3A8: D89A2180 0000D403
	ds_write_b64 v3, v[214:215] offset:17280                   // 00000000C3B0: D89A4380 0000D603
	s_waitcnt lgkmcnt(0)                                       // 00000000C3B8: BF8CC07F
	s_barrier                                                  // 00000000C3BC: BF8A0000
	ds_read_b32 v64, v4 offset:2048                            // 00000000C3C0: D86C0800 40000004
	ds_read_b32 v65, v4 offset:6400                            // 00000000C3C8: D86C1900 41000004
	ds_read_b32 v66, v4 offset:2080                            // 00000000C3D0: D86C0820 42000004
	ds_read_b32 v67, v4 offset:6432                            // 00000000C3D8: D86C1920 43000004
	ds_read_b32 v68, v4 offset:2112                            // 00000000C3E0: D86C0840 44000004
	ds_read_b32 v69, v4 offset:6464                            // 00000000C3E8: D86C1940 45000004
	ds_read_b32 v70, v4 offset:2144                            // 00000000C3F0: D86C0860 46000004
	ds_read_b32 v71, v4 offset:6496                            // 00000000C3F8: D86C1960 47000004
	ds_read_b32 v72, v4 offset:10752                           // 00000000C400: D86C2A00 48000004
	ds_read_b32 v73, v4 offset:15104                           // 00000000C408: D86C3B00 49000004
	ds_read_b32 v74, v4 offset:10784                           // 00000000C410: D86C2A20 4A000004
	ds_read_b32 v75, v4 offset:15136                           // 00000000C418: D86C3B20 4B000004
	ds_read_b32 v76, v4 offset:10816                           // 00000000C420: D86C2A40 4C000004
	ds_read_b32 v77, v4 offset:15168                           // 00000000C428: D86C3B40 4D000004
	ds_read_b32 v78, v4 offset:10848                           // 00000000C430: D86C2A60 4E000004
	ds_read_b32 v79, v4 offset:15200                           // 00000000C438: D86C3B60 4F000004
	s_waitcnt lgkmcnt(0)                                       // 00000000C440: BF8CC07F
	s_mov_b64 exec, s[20:21]                                   // 00000000C444: BEFE0114
	global_atomic_pk_add_bf16 v80, v64, s[8:9]                 // 00000000C448: DD488000 00084050
	s_mov_b64 exec, s[36:37]                                   // 00000000C450: BEFE0124
	s_mov_b64 exec, s[20:21]                                   // 00000000C454: BEFE0114
	global_atomic_pk_add_bf16 v80, v65, s[8:9] offset:256      // 00000000C458: DD488100 00084150
	s_mov_b64 exec, s[36:37]                                   // 00000000C460: BEFE0124
	s_mov_b64 exec, s[22:23]                                   // 00000000C464: BEFE0116
	global_atomic_pk_add_bf16 v82, v66, s[8:9]                 // 00000000C468: DD488000 00084252
	s_mov_b64 exec, s[36:37]                                   // 00000000C470: BEFE0124
	s_mov_b64 exec, s[22:23]                                   // 00000000C474: BEFE0116
	global_atomic_pk_add_bf16 v82, v67, s[8:9] offset:256      // 00000000C478: DD488100 00084352
	s_mov_b64 exec, s[36:37]                                   // 00000000C480: BEFE0124
	s_mov_b64 exec, s[24:25]                                   // 00000000C484: BEFE0118
	global_atomic_pk_add_bf16 v84, v68, s[8:9]                 // 00000000C488: DD488000 00084454
	s_mov_b64 exec, s[36:37]                                   // 00000000C490: BEFE0124
	s_mov_b64 exec, s[24:25]                                   // 00000000C494: BEFE0118
	global_atomic_pk_add_bf16 v84, v69, s[8:9] offset:256      // 00000000C498: DD488100 00084554
	s_mov_b64 exec, s[36:37]                                   // 00000000C4A0: BEFE0124
	s_mov_b64 exec, s[26:27]                                   // 00000000C4A4: BEFE011A
	global_atomic_pk_add_bf16 v86, v70, s[8:9]                 // 00000000C4A8: DD488000 00084656
	s_mov_b64 exec, s[36:37]                                   // 00000000C4B0: BEFE0124
	s_mov_b64 exec, s[26:27]                                   // 00000000C4B4: BEFE011A
	global_atomic_pk_add_bf16 v86, v71, s[8:9] offset:256      // 00000000C4B8: DD488100 00084756
	s_mov_b64 exec, s[36:37]                                   // 00000000C4C0: BEFE0124
	s_mov_b64 exec, s[28:29]                                   // 00000000C4C4: BEFE011C
	global_atomic_pk_add_bf16 v88, v72, s[8:9]                 // 00000000C4C8: DD488000 00084858
	s_mov_b64 exec, s[36:37]                                   // 00000000C4D0: BEFE0124
	s_mov_b64 exec, s[28:29]                                   // 00000000C4D4: BEFE011C
	global_atomic_pk_add_bf16 v88, v73, s[8:9] offset:256      // 00000000C4D8: DD488100 00084958
	s_mov_b64 exec, s[36:37]                                   // 00000000C4E0: BEFE0124
	s_mov_b64 exec, s[30:31]                                   // 00000000C4E4: BEFE011E
	global_atomic_pk_add_bf16 v90, v74, s[8:9]                 // 00000000C4E8: DD488000 00084A5A
	s_mov_b64 exec, s[36:37]                                   // 00000000C4F0: BEFE0124
	s_mov_b64 exec, s[30:31]                                   // 00000000C4F4: BEFE011E
	global_atomic_pk_add_bf16 v90, v75, s[8:9] offset:256      // 00000000C4F8: DD488100 00084B5A
	s_mov_b64 exec, s[36:37]                                   // 00000000C500: BEFE0124
	s_mov_b64 exec, s[32:33]                                   // 00000000C504: BEFE0120
	global_atomic_pk_add_bf16 v92, v76, s[8:9]                 // 00000000C508: DD488000 00084C5C
	s_mov_b64 exec, s[36:37]                                   // 00000000C510: BEFE0124
	s_mov_b64 exec, s[32:33]                                   // 00000000C514: BEFE0120
	global_atomic_pk_add_bf16 v92, v77, s[8:9] offset:256      // 00000000C518: DD488100 00084D5C
	s_mov_b64 exec, s[36:37]                                   // 00000000C520: BEFE0124
	s_mov_b64 exec, s[34:35]                                   // 00000000C524: BEFE0122
	global_atomic_pk_add_bf16 v94, v78, s[8:9]                 // 00000000C528: DD488000 00084E5E
	s_mov_b64 exec, s[36:37]                                   // 00000000C530: BEFE0124
	s_mov_b64 exec, s[34:35]                                   // 00000000C534: BEFE0122
	global_atomic_pk_add_bf16 v94, v79, s[8:9] offset:256      // 00000000C538: DD488100 00084F5E
	s_mov_b64 exec, s[36:37]                                   // 00000000C540: BEFE0124
	s_add_u32 s8, s59, s8                                      // 00000000C544: 8008083B
	s_addc_u32 s9, 0, s9                                       // 00000000C548: 82090980
	s_addk_i32 s80, 0x100                                      // 00000000C54C: B7500100
	s_cmp_lt_i32 s80, s81                                      // 00000000C550: BF045150
	s_cbranch_scc0 label_152F                                  // 00000000C554: BF84EE99
	s_branch label_2112                                        // 00000000C558: BF82FA7B

000000000000c55c <label_2697>:
	s_waitcnt vmcnt(0) expcnt(0) lgkmcnt(0)                    // 00000000C55C: BF8C0000
	s_endpgm                                                   // 00000000C560: BF810000
